;; amdgpu-corpus repo=ROCm/rocFFT kind=compiled arch=gfx906 opt=O3
	.text
	.amdgcn_target "amdgcn-amd-amdhsa--gfx906"
	.amdhsa_code_object_version 6
	.protected	fft_rtc_back_len2916_factors_6_6_3_3_3_3_wgs_243_tpt_243_halfLds_dp_op_CI_CI_unitstride_sbrr_R2C_dirReg ; -- Begin function fft_rtc_back_len2916_factors_6_6_3_3_3_3_wgs_243_tpt_243_halfLds_dp_op_CI_CI_unitstride_sbrr_R2C_dirReg
	.globl	fft_rtc_back_len2916_factors_6_6_3_3_3_3_wgs_243_tpt_243_halfLds_dp_op_CI_CI_unitstride_sbrr_R2C_dirReg
	.p2align	8
	.type	fft_rtc_back_len2916_factors_6_6_3_3_3_3_wgs_243_tpt_243_halfLds_dp_op_CI_CI_unitstride_sbrr_R2C_dirReg,@function
fft_rtc_back_len2916_factors_6_6_3_3_3_3_wgs_243_tpt_243_halfLds_dp_op_CI_CI_unitstride_sbrr_R2C_dirReg: ; @fft_rtc_back_len2916_factors_6_6_3_3_3_3_wgs_243_tpt_243_halfLds_dp_op_CI_CI_unitstride_sbrr_R2C_dirReg
; %bb.0:
	s_load_dwordx4 s[8:11], s[4:5], 0x58
	s_load_dwordx4 s[12:15], s[4:5], 0x0
	;; [unrolled: 1-line block ×3, first 2 shown]
	v_mul_u32_u24_e32 v1, 0x10e, v0
	v_add_u32_sdwa v5, s6, v1 dst_sel:DWORD dst_unused:UNUSED_PAD src0_sel:DWORD src1_sel:WORD_1
	v_mov_b32_e32 v3, 0
	s_waitcnt lgkmcnt(0)
	v_cmp_lt_u64_e64 s[0:1], s[14:15], 2
	v_mov_b32_e32 v1, 0
	v_mov_b32_e32 v6, v3
	s_and_b64 vcc, exec, s[0:1]
	v_mov_b32_e32 v2, 0
	s_cbranch_vccnz .LBB0_8
; %bb.1:
	s_load_dwordx2 s[0:1], s[4:5], 0x10
	s_add_u32 s2, s18, 8
	s_addc_u32 s3, s19, 0
	s_add_u32 s6, s16, 8
	v_mov_b32_e32 v1, 0
	s_addc_u32 s7, s17, 0
	v_mov_b32_e32 v2, 0
	s_waitcnt lgkmcnt(0)
	s_add_u32 s20, s0, 8
	v_mov_b32_e32 v9, v2
	s_addc_u32 s21, s1, 0
	s_mov_b64 s[22:23], 1
	v_mov_b32_e32 v8, v1
.LBB0_2:                                ; =>This Inner Loop Header: Depth=1
	s_load_dwordx2 s[24:25], s[20:21], 0x0
                                        ; implicit-def: $vgpr12_vgpr13
	s_waitcnt lgkmcnt(0)
	v_or_b32_e32 v4, s25, v6
	v_cmp_ne_u64_e32 vcc, 0, v[3:4]
	s_and_saveexec_b64 s[0:1], vcc
	s_xor_b64 s[26:27], exec, s[0:1]
	s_cbranch_execz .LBB0_4
; %bb.3:                                ;   in Loop: Header=BB0_2 Depth=1
	v_cvt_f32_u32_e32 v4, s24
	v_cvt_f32_u32_e32 v7, s25
	s_sub_u32 s0, 0, s24
	s_subb_u32 s1, 0, s25
	v_mac_f32_e32 v4, 0x4f800000, v7
	v_rcp_f32_e32 v4, v4
	v_mul_f32_e32 v4, 0x5f7ffffc, v4
	v_mul_f32_e32 v7, 0x2f800000, v4
	v_trunc_f32_e32 v7, v7
	v_mac_f32_e32 v4, 0xcf800000, v7
	v_cvt_u32_f32_e32 v7, v7
	v_cvt_u32_f32_e32 v4, v4
	v_mul_lo_u32 v10, s0, v7
	v_mul_hi_u32 v11, s0, v4
	v_mul_lo_u32 v13, s1, v4
	v_mul_lo_u32 v12, s0, v4
	v_add_u32_e32 v10, v11, v10
	v_add_u32_e32 v10, v10, v13
	v_mul_hi_u32 v11, v4, v12
	v_mul_lo_u32 v13, v4, v10
	v_mul_hi_u32 v15, v4, v10
	v_mul_hi_u32 v14, v7, v12
	v_mul_lo_u32 v12, v7, v12
	v_mul_hi_u32 v16, v7, v10
	v_add_co_u32_e32 v11, vcc, v11, v13
	v_addc_co_u32_e32 v13, vcc, 0, v15, vcc
	v_mul_lo_u32 v10, v7, v10
	v_add_co_u32_e32 v11, vcc, v11, v12
	v_addc_co_u32_e32 v11, vcc, v13, v14, vcc
	v_addc_co_u32_e32 v12, vcc, 0, v16, vcc
	v_add_co_u32_e32 v10, vcc, v11, v10
	v_addc_co_u32_e32 v11, vcc, 0, v12, vcc
	v_add_co_u32_e32 v4, vcc, v4, v10
	v_addc_co_u32_e32 v7, vcc, v7, v11, vcc
	v_mul_lo_u32 v10, s0, v7
	v_mul_hi_u32 v11, s0, v4
	v_mul_lo_u32 v12, s1, v4
	v_mul_lo_u32 v13, s0, v4
	v_add_u32_e32 v10, v11, v10
	v_add_u32_e32 v10, v10, v12
	v_mul_lo_u32 v14, v4, v10
	v_mul_hi_u32 v15, v4, v13
	v_mul_hi_u32 v16, v4, v10
	v_mul_hi_u32 v12, v7, v13
	v_mul_lo_u32 v13, v7, v13
	v_mul_hi_u32 v11, v7, v10
	v_add_co_u32_e32 v14, vcc, v15, v14
	v_addc_co_u32_e32 v15, vcc, 0, v16, vcc
	v_mul_lo_u32 v10, v7, v10
	v_add_co_u32_e32 v13, vcc, v14, v13
	v_addc_co_u32_e32 v12, vcc, v15, v12, vcc
	v_addc_co_u32_e32 v11, vcc, 0, v11, vcc
	v_add_co_u32_e32 v10, vcc, v12, v10
	v_addc_co_u32_e32 v11, vcc, 0, v11, vcc
	v_add_co_u32_e32 v4, vcc, v4, v10
	v_addc_co_u32_e32 v7, vcc, v7, v11, vcc
	v_mad_u64_u32 v[10:11], s[0:1], v5, v7, 0
	v_mul_hi_u32 v12, v5, v4
	v_add_co_u32_e32 v14, vcc, v12, v10
	v_addc_co_u32_e32 v15, vcc, 0, v11, vcc
	v_mad_u64_u32 v[10:11], s[0:1], v6, v4, 0
	v_mad_u64_u32 v[12:13], s[0:1], v6, v7, 0
	v_add_co_u32_e32 v4, vcc, v14, v10
	v_addc_co_u32_e32 v4, vcc, v15, v11, vcc
	v_addc_co_u32_e32 v7, vcc, 0, v13, vcc
	v_add_co_u32_e32 v4, vcc, v4, v12
	v_addc_co_u32_e32 v7, vcc, 0, v7, vcc
	v_mul_lo_u32 v12, s25, v4
	v_mul_lo_u32 v13, s24, v7
	v_mad_u64_u32 v[10:11], s[0:1], s24, v4, 0
	v_add3_u32 v11, v11, v13, v12
	v_sub_u32_e32 v12, v6, v11
	v_mov_b32_e32 v13, s25
	v_sub_co_u32_e32 v10, vcc, v5, v10
	v_subb_co_u32_e64 v12, s[0:1], v12, v13, vcc
	v_subrev_co_u32_e64 v13, s[0:1], s24, v10
	v_subbrev_co_u32_e64 v12, s[0:1], 0, v12, s[0:1]
	v_cmp_le_u32_e64 s[0:1], s25, v12
	v_cndmask_b32_e64 v14, 0, -1, s[0:1]
	v_cmp_le_u32_e64 s[0:1], s24, v13
	v_cndmask_b32_e64 v13, 0, -1, s[0:1]
	v_cmp_eq_u32_e64 s[0:1], s25, v12
	v_cndmask_b32_e64 v12, v14, v13, s[0:1]
	v_add_co_u32_e64 v14, s[0:1], 2, v4
	v_addc_co_u32_e64 v13, s[0:1], 0, v7, s[0:1]
	v_add_co_u32_e64 v15, s[0:1], 1, v4
	v_addc_co_u32_e64 v16, s[0:1], 0, v7, s[0:1]
	v_subb_co_u32_e32 v11, vcc, v6, v11, vcc
	v_cmp_ne_u32_e64 s[0:1], 0, v12
	v_cmp_le_u32_e32 vcc, s25, v11
	v_cndmask_b32_e64 v12, v16, v13, s[0:1]
	v_cndmask_b32_e64 v13, 0, -1, vcc
	v_cmp_le_u32_e32 vcc, s24, v10
	v_cndmask_b32_e64 v10, 0, -1, vcc
	v_cmp_eq_u32_e32 vcc, s25, v11
	v_cndmask_b32_e32 v10, v13, v10, vcc
	v_cmp_ne_u32_e32 vcc, 0, v10
	v_cndmask_b32_e32 v13, v7, v12, vcc
	v_cndmask_b32_e64 v7, v15, v14, s[0:1]
	v_cndmask_b32_e32 v12, v4, v7, vcc
.LBB0_4:                                ;   in Loop: Header=BB0_2 Depth=1
	s_andn2_saveexec_b64 s[0:1], s[26:27]
	s_cbranch_execz .LBB0_6
; %bb.5:                                ;   in Loop: Header=BB0_2 Depth=1
	v_cvt_f32_u32_e32 v4, s24
	s_sub_i32 s26, 0, s24
	v_mov_b32_e32 v13, v3
	v_rcp_iflag_f32_e32 v4, v4
	v_mul_f32_e32 v4, 0x4f7ffffe, v4
	v_cvt_u32_f32_e32 v4, v4
	v_mul_lo_u32 v7, s26, v4
	v_mul_hi_u32 v7, v4, v7
	v_add_u32_e32 v4, v4, v7
	v_mul_hi_u32 v4, v5, v4
	v_mul_lo_u32 v7, v4, s24
	v_add_u32_e32 v10, 1, v4
	v_sub_u32_e32 v7, v5, v7
	v_subrev_u32_e32 v11, s24, v7
	v_cmp_le_u32_e32 vcc, s24, v7
	v_cndmask_b32_e32 v7, v7, v11, vcc
	v_cndmask_b32_e32 v4, v4, v10, vcc
	v_add_u32_e32 v10, 1, v4
	v_cmp_le_u32_e32 vcc, s24, v7
	v_cndmask_b32_e32 v12, v4, v10, vcc
.LBB0_6:                                ;   in Loop: Header=BB0_2 Depth=1
	s_or_b64 exec, exec, s[0:1]
	v_mul_lo_u32 v4, v13, s24
	v_mul_lo_u32 v7, v12, s25
	v_mad_u64_u32 v[10:11], s[0:1], v12, s24, 0
	s_load_dwordx2 s[0:1], s[6:7], 0x0
	s_load_dwordx2 s[24:25], s[2:3], 0x0
	v_add3_u32 v4, v11, v7, v4
	v_sub_co_u32_e32 v5, vcc, v5, v10
	v_subb_co_u32_e32 v4, vcc, v6, v4, vcc
	s_waitcnt lgkmcnt(0)
	v_mul_lo_u32 v6, s0, v4
	v_mul_lo_u32 v7, s1, v5
	v_mad_u64_u32 v[1:2], s[0:1], s0, v5, v[1:2]
	v_mul_lo_u32 v4, s24, v4
	v_mul_lo_u32 v10, s25, v5
	v_mad_u64_u32 v[8:9], s[0:1], s24, v5, v[8:9]
	s_add_u32 s22, s22, 1
	s_addc_u32 s23, s23, 0
	s_add_u32 s2, s2, 8
	v_add3_u32 v9, v10, v9, v4
	s_addc_u32 s3, s3, 0
	v_mov_b32_e32 v4, s14
	s_add_u32 s6, s6, 8
	v_mov_b32_e32 v5, s15
	s_addc_u32 s7, s7, 0
	v_cmp_ge_u64_e32 vcc, s[22:23], v[4:5]
	s_add_u32 s20, s20, 8
	v_add3_u32 v2, v7, v2, v6
	s_addc_u32 s21, s21, 0
	s_cbranch_vccnz .LBB0_9
; %bb.7:                                ;   in Loop: Header=BB0_2 Depth=1
	v_mov_b32_e32 v5, v12
	v_mov_b32_e32 v6, v13
	s_branch .LBB0_2
.LBB0_8:
	v_mov_b32_e32 v9, v2
	v_mov_b32_e32 v13, v6
	;; [unrolled: 1-line block ×4, first 2 shown]
.LBB0_9:
	s_load_dwordx2 s[4:5], s[4:5], 0x28
	s_lshl_b64 s[6:7], s[14:15], 3
	s_add_u32 s2, s18, s6
	s_addc_u32 s3, s19, s7
                                        ; implicit-def: $vgpr10
                                        ; implicit-def: $vgpr14
                                        ; implicit-def: $vgpr17
                                        ; implicit-def: $vgpr16
	s_waitcnt lgkmcnt(0)
	v_cmp_gt_u64_e64 s[0:1], s[4:5], v[12:13]
	v_cmp_le_u64_e32 vcc, s[4:5], v[12:13]
	s_and_saveexec_b64 s[4:5], vcc
	s_xor_b64 s[4:5], exec, s[4:5]
; %bb.10:
	s_mov_b32 s14, 0x10db20b
	v_mul_hi_u32 v1, v0, s14
	v_mul_u32_u24_e32 v1, 0xf3, v1
	v_sub_u32_e32 v10, v0, v1
	v_add_u32_e32 v14, 0xf3, v10
	v_add_u32_e32 v17, 0x1e6, v10
	;; [unrolled: 1-line block ×3, first 2 shown]
                                        ; implicit-def: $vgpr0
                                        ; implicit-def: $vgpr1_vgpr2
; %bb.11:
	s_andn2_saveexec_b64 s[4:5], s[4:5]
	s_cbranch_execz .LBB0_13
; %bb.12:
	s_add_u32 s6, s16, s6
	s_addc_u32 s7, s17, s7
	s_load_dwordx2 s[6:7], s[6:7], 0x0
	s_mov_b32 s14, 0x10db20b
	v_mul_hi_u32 v5, v0, s14
	s_waitcnt lgkmcnt(0)
	v_mul_lo_u32 v6, s7, v12
	v_mul_lo_u32 v7, s6, v13
	v_mad_u64_u32 v[3:4], s[6:7], s6, v12, 0
	v_mul_u32_u24_e32 v5, 0xf3, v5
	v_sub_u32_e32 v10, v0, v5
	v_add3_u32 v4, v4, v7, v6
	v_lshlrev_b64 v[3:4], 4, v[3:4]
	v_mov_b32_e32 v0, s9
	v_add_co_u32_e32 v3, vcc, s8, v3
	v_addc_co_u32_e32 v4, vcc, v0, v4, vcc
	v_lshlrev_b64 v[0:1], 4, v[1:2]
	v_lshlrev_b32_e32 v11, 4, v10
	v_add_co_u32_e32 v0, vcc, v3, v0
	v_addc_co_u32_e32 v1, vcc, v4, v1, vcc
	v_add_co_u32_e32 v46, vcc, v0, v11
	v_addc_co_u32_e32 v47, vcc, 0, v1, vcc
	s_movk_i32 s6, 0x1000
	v_add_co_u32_e32 v22, vcc, s6, v46
	v_addc_co_u32_e32 v23, vcc, 0, v47, vcc
	s_movk_i32 s6, 0x2000
	;; [unrolled: 3-line block ×7, first 2 shown]
	v_add_co_u32_e32 v48, vcc, s6, v46
	v_addc_co_u32_e32 v49, vcc, 0, v47, vcc
	s_mov_b32 s6, 0x8000
	v_add_co_u32_e32 v50, vcc, s6, v46
	v_addc_co_u32_e32 v51, vcc, 0, v47, vcc
	v_add_co_u32_e32 v54, vcc, 0x9000, v46
	v_addc_co_u32_e32 v55, vcc, 0, v47, vcc
	global_load_dwordx4 v[0:3], v[46:47], off
	global_load_dwordx4 v[4:7], v[46:47], off offset:3888
	global_load_dwordx4 v[14:17], v[22:23], off offset:3680
	;; [unrolled: 1-line block ×3, first 2 shown]
	s_nop 0
	global_load_dwordx4 v[22:25], v[30:31], off offset:3264
	global_load_dwordx4 v[26:29], v[32:33], off offset:3056
	s_nop 0
	global_load_dwordx4 v[30:33], v[38:39], off offset:2848
	global_load_dwordx4 v[34:37], v[40:41], off offset:2640
	v_add_co_u32_e32 v56, vcc, 0xa000, v46
	global_load_dwordx4 v[38:41], v[48:49], off offset:2432
	global_load_dwordx4 v[42:45], v[50:51], off offset:2224
	v_addc_co_u32_e32 v57, vcc, 0, v47, vcc
	global_load_dwordx4 v[46:49], v[54:55], off offset:2016
	global_load_dwordx4 v[50:53], v[56:57], off offset:1808
	v_add_u32_e32 v11, 0, v11
	s_waitcnt vmcnt(11)
	ds_write_b128 v11, v[0:3]
	s_waitcnt vmcnt(10)
	ds_write_b128 v11, v[4:7] offset:3888
	s_waitcnt vmcnt(9)
	ds_write_b128 v11, v[14:17] offset:7776
	;; [unrolled: 2-line block ×8, first 2 shown]
	v_add_u32_e32 v14, 0xf3, v10
	v_add_u32_e32 v17, 0x1e6, v10
	;; [unrolled: 1-line block ×3, first 2 shown]
	s_waitcnt vmcnt(2)
	ds_write_b128 v11, v[42:45] offset:34992
	s_waitcnt vmcnt(1)
	ds_write_b128 v11, v[46:49] offset:38880
	;; [unrolled: 2-line block ×3, first 2 shown]
.LBB0_13:
	s_or_b64 exec, exec, s[4:5]
	v_lshlrev_b32_e32 v0, 4, v10
	v_add_u32_e32 v23, 0, v0
	s_load_dwordx2 s[2:3], s[2:3], 0x0
	s_waitcnt lgkmcnt(0)
	s_barrier
	ds_read_b128 v[1:4], v23 offset:38880
	ds_read_b128 v[18:21], v23
	ds_read_b128 v[24:27], v23 offset:23328
	ds_read_b128 v[28:31], v23 offset:31104
	;; [unrolled: 1-line block ×5, first 2 shown]
	s_waitcnt lgkmcnt(4)
	v_add_f64 v[5:6], v[26:27], v[3:4]
	ds_read_b128 v[44:47], v23 offset:11664
	ds_read_b128 v[48:51], v23 offset:42768
	ds_read_b128 v[52:55], v23 offset:7776
	v_add_f64 v[68:69], v[24:25], -v[1:2]
	v_add_f64 v[70:71], v[24:25], v[1:2]
	s_mov_b32 s4, 0xe8584caa
	s_mov_b32 s5, 0xbfebb67a
	;; [unrolled: 1-line block ×4, first 2 shown]
	s_waitcnt lgkmcnt(0)
	v_fma_f64 v[5:6], v[5:6], -0.5, v[54:55]
	v_add_f64 v[64:65], v[18:19], v[40:41]
	v_add_f64 v[74:75], v[26:27], -v[3:4]
	v_fma_f64 v[70:71], v[70:71], -0.5, v[52:53]
	v_add_f64 v[66:67], v[20:21], v[42:43]
	v_add_f64 v[72:73], v[40:41], v[28:29]
	v_add_f64 v[78:79], v[42:43], -v[30:31]
	v_add_f64 v[24:25], v[52:53], v[24:25]
	v_fma_f64 v[76:77], v[68:69], s[6:7], v[5:6]
	v_add_f64 v[42:43], v[42:43], v[30:31]
	v_add_f64 v[26:27], v[54:55], v[26:27]
	v_add_f64 v[40:41], v[40:41], -v[28:29]
	v_add_f64 v[28:29], v[64:65], v[28:29]
	v_fma_f64 v[54:55], v[74:75], s[4:5], v[70:71]
	v_fma_f64 v[5:6], v[68:69], s[4:5], v[5:6]
	v_add_f64 v[24:25], v[24:25], v[1:2]
	v_mul_f64 v[52:53], v[76:77], s[4:5]
	v_mul_f64 v[64:65], v[76:77], 0.5
	v_fma_f64 v[1:2], v[72:73], -0.5, v[18:19]
	v_fma_f64 v[18:19], v[42:43], -0.5, v[20:21]
	v_add_f64 v[20:21], v[26:27], v[3:4]
	v_fma_f64 v[26:27], v[74:75], s[6:7], v[70:71]
	v_add_f64 v[30:31], v[66:67], v[30:31]
	ds_read_b128 v[56:59], v23 offset:3888
	ds_read_b128 v[60:63], v23 offset:27216
	v_fma_f64 v[42:43], v[54:55], 0.5, v[52:53]
	v_fma_f64 v[52:53], v[54:55], s[6:7], v[64:65]
	v_mul_f64 v[54:55], v[5:6], s[4:5]
	v_mul_f64 v[5:6], v[5:6], -0.5
	v_fma_f64 v[64:65], v[78:79], s[4:5], v[1:2]
	v_fma_f64 v[66:67], v[40:41], s[6:7], v[18:19]
	;; [unrolled: 1-line block ×4, first 2 shown]
	v_add_f64 v[1:2], v[28:29], v[24:25]
	v_add_f64 v[3:4], v[30:31], v[20:21]
	v_fma_f64 v[54:55], v[26:27], -0.5, v[54:55]
	v_fma_f64 v[5:6], v[26:27], s[6:7], v[5:6]
	v_add_f64 v[18:19], v[28:29], -v[24:25]
	v_add_f64 v[24:25], v[64:65], v[42:43]
	v_add_f64 v[26:27], v[66:67], v[52:53]
	s_movk_i32 s8, 0x50
	v_add_f64 v[20:21], v[30:31], -v[20:21]
	v_add_f64 v[28:29], v[64:65], -v[42:43]
	;; [unrolled: 1-line block ×3, first 2 shown]
	v_add_f64 v[40:41], v[68:69], v[54:55]
	v_add_f64 v[42:43], v[70:71], v[5:6]
	v_add_f64 v[52:53], v[68:69], -v[54:55]
	v_add_f64 v[54:55], v[70:71], -v[5:6]
	v_mad_u32_u24 v5, v10, s8, v23
	s_waitcnt lgkmcnt(0)
	s_barrier
	ds_write_b128 v5, v[1:4]
	ds_write_b128 v5, v[24:27] offset:16
	v_add_f64 v[1:2], v[62:63], v[50:51]
	ds_write_b128 v5, v[40:43] offset:32
	ds_write_b128 v5, v[18:21] offset:48
	;; [unrolled: 1-line block ×4, first 2 shown]
	v_add_f64 v[5:6], v[60:61], v[48:49]
	v_add_f64 v[18:19], v[60:61], -v[48:49]
	v_add_f64 v[3:4], v[56:57], v[32:33]
	v_add_f64 v[20:21], v[58:59], v[34:35]
	;; [unrolled: 1-line block ×3, first 2 shown]
	v_add_f64 v[26:27], v[34:35], -v[38:39]
	v_fma_f64 v[1:2], v[1:2], -0.5, v[46:47]
	v_add_f64 v[34:35], v[34:35], v[38:39]
	v_fma_f64 v[5:6], v[5:6], -0.5, v[44:45]
	v_add_f64 v[42:43], v[62:63], -v[50:51]
	v_add_f64 v[32:33], v[32:33], -v[36:37]
	v_add_f64 v[36:37], v[3:4], v[36:37]
	v_add_f64 v[28:29], v[44:45], v[60:61]
	;; [unrolled: 1-line block ×3, first 2 shown]
	v_fma_f64 v[40:41], v[18:19], s[6:7], v[1:2]
	v_fma_f64 v[3:4], v[18:19], s[4:5], v[1:2]
	v_add_f64 v[20:21], v[20:21], v[38:39]
	v_fma_f64 v[38:39], v[42:43], s[4:5], v[5:6]
	v_fma_f64 v[24:25], v[24:25], -0.5, v[56:57]
	v_fma_f64 v[34:35], v[34:35], -0.5, v[58:59]
	v_fma_f64 v[5:6], v[42:43], s[6:7], v[5:6]
	v_add_f64 v[28:29], v[28:29], v[48:49]
	v_mul_f64 v[18:19], v[40:41], s[4:5]
	v_mul_f64 v[40:41], v[40:41], 0.5
	v_mul_f64 v[42:43], v[3:4], s[4:5]
	v_mul_f64 v[3:4], v[3:4], -0.5
	v_add_f64 v[30:31], v[30:31], v[50:51]
	v_fma_f64 v[46:47], v[32:33], s[6:7], v[34:35]
	v_fma_f64 v[48:49], v[26:27], s[6:7], v[24:25]
	;; [unrolled: 1-line block ×3, first 2 shown]
	v_fma_f64 v[44:45], v[38:39], 0.5, v[18:19]
	v_fma_f64 v[38:39], v[38:39], s[6:7], v[40:41]
	v_fma_f64 v[40:41], v[26:27], s[4:5], v[24:25]
	v_fma_f64 v[42:43], v[5:6], -0.5, v[42:43]
	v_fma_f64 v[5:6], v[5:6], s[6:7], v[3:4]
	v_add_f64 v[1:2], v[36:37], v[28:29]
	v_add_f64 v[3:4], v[20:21], v[30:31]
	v_add_f64 v[18:19], v[36:37], -v[28:29]
	v_add_f64 v[20:21], v[20:21], -v[30:31]
	v_add_f64 v[27:28], v[46:47], v[38:39]
	v_add_f64 v[25:26], v[40:41], v[44:45]
	v_add_f64 v[33:34], v[48:49], v[42:43]
	v_add_f64 v[35:36], v[50:51], v[5:6]
	v_add_f64 v[29:30], v[40:41], -v[44:45]
	v_add_f64 v[31:32], v[46:47], -v[38:39]
	;; [unrolled: 1-line block ×4, first 2 shown]
	v_mul_i32_i24_e32 v5, 6, v14
	v_lshl_add_u32 v24, v5, 4, 0
	s_movk_i32 s9, 0xab
	ds_write_b128 v24, v[1:4]
	ds_write_b128 v24, v[25:28] offset:16
	ds_write_b128 v24, v[33:36] offset:32
	;; [unrolled: 1-line block ×5, first 2 shown]
	v_mul_lo_u16_sdwa v1, v10, s9 dst_sel:DWORD dst_unused:UNUSED_PAD src0_sel:BYTE_0 src1_sel:DWORD
	v_lshrrev_b16_e32 v2, 10, v1
	v_mul_lo_u16_e32 v1, 6, v2
	v_sub_u16_e32 v11, v10, v1
	v_mov_b32_e32 v1, 5
	v_mul_u32_u24_sdwa v3, v11, v1 dst_sel:DWORD dst_unused:UNUSED_PAD src0_sel:BYTE_0 src1_sel:DWORD
	v_lshlrev_b32_e32 v3, 4, v3
	s_waitcnt lgkmcnt(0)
	s_barrier
	global_load_dwordx4 v[18:21], v3, s[12:13]
	global_load_dwordx4 v[26:29], v3, s[12:13] offset:16
	global_load_dwordx4 v[30:33], v3, s[12:13] offset:32
	;; [unrolled: 1-line block ×4, first 2 shown]
	s_mov_b32 s9, 0xaaab
	v_mul_u32_u24_sdwa v3, v14, s9 dst_sel:DWORD dst_unused:UNUSED_PAD src0_sel:WORD_0 src1_sel:DWORD
	v_lshrrev_b32_e32 v4, 18, v3
	v_mul_lo_u16_e32 v3, 6, v4
	v_sub_u16_e32 v5, v14, v3
	v_mul_u32_u24_e32 v3, 5, v5
	v_lshlrev_b32_e32 v15, 4, v3
	global_load_dwordx4 v[42:45], v15, s[12:13]
	s_movk_i32 s9, 0xffb0
	v_lshl_add_u32 v25, v17, 4, 0
	v_mad_i32_i24 v3, v14, s9, v24
	ds_read_b128 v[46:49], v25
	ds_read_b128 v[50:53], v3
	ds_read_b128 v[54:57], v23 offset:15552
	ds_read_b128 v[58:61], v23 offset:11664
	;; [unrolled: 1-line block ×3, first 2 shown]
	v_mul_u32_u24_e32 v4, 0x240, v4
	v_lshlrev_b32_e32 v5, 4, v5
	v_add3_u32 v4, 0, v4, v5
	s_mov_b32 s9, 0xe38f
	s_movk_i32 s14, 0x1000
	s_movk_i32 s15, 0x51
	s_waitcnt vmcnt(5) lgkmcnt(4)
	v_mul_f64 v[6:7], v[48:49], v[20:21]
	v_mul_f64 v[20:21], v[46:47], v[20:21]
	s_waitcnt vmcnt(4) lgkmcnt(2)
	v_mul_f64 v[66:67], v[56:57], v[28:29]
	v_mul_f64 v[28:29], v[54:55], v[28:29]
	v_fma_f64 v[6:7], v[46:47], v[18:19], v[6:7]
	v_fma_f64 v[68:69], v[48:49], v[18:19], -v[20:21]
	v_fma_f64 v[66:67], v[54:55], v[26:27], v[66:67]
	ds_read_b128 v[18:21], v23 offset:19440
	ds_read_b128 v[46:49], v23 offset:31104
	s_waitcnt vmcnt(3) lgkmcnt(2)
	v_mul_f64 v[54:55], v[64:65], v[32:33]
	v_mul_f64 v[32:33], v[62:63], v[32:33]
	v_fma_f64 v[70:71], v[56:57], v[26:27], -v[28:29]
	ds_read_b128 v[26:29], v23 offset:27216
	s_waitcnt vmcnt(2) lgkmcnt(1)
	v_mul_f64 v[72:73], v[48:49], v[36:37]
	v_mul_f64 v[36:37], v[46:47], v[36:37]
	v_fma_f64 v[62:63], v[62:63], v[30:31], v[54:55]
	v_fma_f64 v[64:65], v[64:65], v[30:31], -v[32:33]
	ds_read_b128 v[30:33], v23 offset:38880
	global_load_dwordx4 v[54:57], v15, s[12:13] offset:16
	v_fma_f64 v[72:73], v[46:47], v[34:35], v[72:73]
	v_fma_f64 v[74:75], v[48:49], v[34:35], -v[36:37]
	global_load_dwordx4 v[46:49], v15, s[12:13] offset:32
	ds_read_b128 v[34:37], v23 offset:34992
	s_waitcnt vmcnt(3) lgkmcnt(1)
	v_mul_f64 v[76:77], v[32:33], v[40:41]
	v_mul_f64 v[40:41], v[30:31], v[40:41]
	v_fma_f64 v[76:77], v[30:31], v[38:39], v[76:77]
	v_fma_f64 v[78:79], v[32:33], v[38:39], -v[40:41]
	global_load_dwordx4 v[30:33], v15, s[12:13] offset:48
	s_waitcnt vmcnt(3)
	v_mul_f64 v[38:39], v[60:61], v[44:45]
	v_mul_f64 v[40:41], v[58:59], v[44:45]
	v_fma_f64 v[58:59], v[58:59], v[42:43], v[38:39]
	v_fma_f64 v[60:61], v[60:61], v[42:43], -v[40:41]
	global_load_dwordx4 v[38:41], v15, s[12:13] offset:64
	s_waitcnt vmcnt(3)
	v_mul_f64 v[42:43], v[20:21], v[56:57]
	v_mul_f64 v[44:45], v[18:19], v[56:57]
	v_fma_f64 v[56:57], v[18:19], v[54:55], v[42:43]
	v_fma_f64 v[54:55], v[20:21], v[54:55], -v[44:45]
	s_waitcnt vmcnt(2)
	v_mul_f64 v[18:19], v[28:29], v[48:49]
	v_mul_f64 v[20:21], v[26:27], v[48:49]
	s_waitcnt vmcnt(1) lgkmcnt(0)
	v_mul_f64 v[42:43], v[36:37], v[32:33]
	v_mul_f64 v[32:33], v[34:35], v[32:33]
	v_fma_f64 v[48:49], v[26:27], v[46:47], v[18:19]
	v_fma_f64 v[46:47], v[28:29], v[46:47], -v[20:21]
	ds_read_b128 v[18:21], v23 offset:42768
	ds_read_b128 v[26:29], v23
	s_waitcnt lgkmcnt(0)
	v_fma_f64 v[80:81], v[34:35], v[30:31], v[42:43]
	v_fma_f64 v[82:83], v[36:37], v[30:31], -v[32:33]
	v_add_f64 v[34:35], v[64:65], v[78:79]
	s_waitcnt vmcnt(0)
	v_mul_f64 v[30:31], v[20:21], v[40:41]
	v_mul_f64 v[32:33], v[18:19], v[40:41]
	v_add_f64 v[36:37], v[66:67], v[72:73]
	v_add_f64 v[40:41], v[28:29], v[70:71]
	s_barrier
	v_fma_f64 v[84:85], v[18:19], v[38:39], v[30:31]
	v_fma_f64 v[86:87], v[20:21], v[38:39], -v[32:33]
	v_add_f64 v[20:21], v[6:7], v[62:63]
	v_fma_f64 v[30:31], v[34:35], -0.5, v[68:69]
	v_add_f64 v[32:33], v[62:63], v[76:77]
	v_add_f64 v[34:35], v[62:63], -v[76:77]
	v_add_f64 v[18:19], v[26:27], v[66:67]
	v_add_f64 v[38:39], v[70:71], v[74:75]
	v_fma_f64 v[26:27], v[36:37], -0.5, v[26:27]
	v_add_f64 v[36:37], v[40:41], v[74:75]
	v_add_f64 v[44:45], v[20:21], v[76:77]
	v_add_f64 v[66:67], v[66:67], -v[72:73]
	v_fma_f64 v[6:7], v[32:33], -0.5, v[6:7]
	v_fma_f64 v[20:21], v[34:35], s[6:7], v[30:31]
	v_add_f64 v[32:33], v[64:65], -v[78:79]
	v_fma_f64 v[30:31], v[34:35], s[4:5], v[30:31]
	v_add_f64 v[42:43], v[18:19], v[72:73]
	v_add_f64 v[18:19], v[68:69], v[64:65]
	v_fma_f64 v[28:29], v[38:39], -0.5, v[28:29]
	v_add_f64 v[64:65], v[70:71], -v[74:75]
	v_mul_f64 v[34:35], v[20:21], s[4:5]
	v_fma_f64 v[40:41], v[32:33], s[4:5], v[6:7]
	v_mul_f64 v[62:63], v[20:21], 0.5
	v_fma_f64 v[6:7], v[32:33], s[6:7], v[6:7]
	v_mul_f64 v[32:33], v[30:31], s[4:5]
	v_mul_f64 v[30:31], v[30:31], -0.5
	v_add_f64 v[38:39], v[18:19], v[78:79]
	v_fma_f64 v[68:69], v[66:67], s[6:7], v[28:29]
	v_fma_f64 v[66:67], v[66:67], s[4:5], v[28:29]
	v_fma_f64 v[34:35], v[40:41], 0.5, v[34:35]
	v_fma_f64 v[40:41], v[40:41], s[6:7], v[62:63]
	v_fma_f64 v[62:63], v[64:65], s[4:5], v[26:27]
	v_fma_f64 v[70:71], v[6:7], -0.5, v[32:33]
	v_fma_f64 v[6:7], v[6:7], s[6:7], v[30:31]
	v_fma_f64 v[64:65], v[64:65], s[6:7], v[26:27]
	v_add_f64 v[18:19], v[42:43], v[44:45]
	v_add_f64 v[20:21], v[36:37], v[38:39]
	v_add_f64 v[26:27], v[42:43], -v[44:45]
	v_add_f64 v[28:29], v[36:37], -v[38:39]
	v_add_f64 v[32:33], v[68:69], v[40:41]
	v_add_f64 v[36:37], v[68:69], -v[40:41]
	v_add_f64 v[40:41], v[66:67], v[6:7]
	v_add_f64 v[44:45], v[66:67], -v[6:7]
	v_mul_u32_u24_e32 v6, 0x240, v2
	v_mov_b32_e32 v2, 4
	v_lshlrev_b32_sdwa v7, v2, v11 dst_sel:DWORD dst_unused:UNUSED_PAD src0_sel:DWORD src1_sel:BYTE_0
	v_add_f64 v[30:31], v[62:63], v[34:35]
	v_add3_u32 v11, 0, v6, v7
	v_add_f64 v[6:7], v[46:47], v[86:87]
	v_add_f64 v[38:39], v[64:65], v[70:71]
	v_add_f64 v[34:35], v[62:63], -v[34:35]
	ds_write_b128 v11, v[18:21]
	ds_write_b128 v11, v[30:33] offset:96
	ds_write_b128 v11, v[38:41] offset:192
	;; [unrolled: 1-line block ×4, first 2 shown]
	v_add_f64 v[20:21], v[50:51], v[56:57]
	v_fma_f64 v[6:7], v[6:7], -0.5, v[60:61]
	v_add_f64 v[26:27], v[48:49], v[84:85]
	v_add_f64 v[28:29], v[48:49], -v[84:85]
	v_add_f64 v[18:19], v[58:59], v[48:49]
	v_add_f64 v[42:43], v[64:65], -v[70:71]
	v_add_f64 v[30:31], v[56:57], v[80:81]
	v_add_f64 v[32:33], v[54:55], v[82:83]
	;; [unrolled: 1-line block ×3, first 2 shown]
	v_add_f64 v[40:41], v[46:47], -v[86:87]
	v_fma_f64 v[26:27], v[26:27], -0.5, v[58:59]
	v_fma_f64 v[20:21], v[28:29], s[6:7], v[6:7]
	v_fma_f64 v[6:7], v[28:29], s[4:5], v[6:7]
	v_add_f64 v[34:35], v[18:19], v[84:85]
	v_add_f64 v[18:19], v[52:53], v[54:55]
	;; [unrolled: 1-line block ×3, first 2 shown]
	ds_write_b128 v11, v[42:45] offset:480
	v_fma_f64 v[30:31], v[30:31], -0.5, v[50:51]
	v_fma_f64 v[32:33], v[32:33], -0.5, v[52:53]
	v_mul_f64 v[28:29], v[20:21], s[4:5]
	v_fma_f64 v[44:45], v[40:41], s[4:5], v[26:27]
	v_mul_f64 v[46:47], v[20:21], 0.5
	v_add_f64 v[48:49], v[54:55], -v[82:83]
	v_add_f64 v[50:51], v[56:57], -v[80:81]
	v_fma_f64 v[26:27], v[40:41], s[6:7], v[26:27]
	v_mul_f64 v[40:41], v[6:7], s[4:5]
	v_mul_f64 v[6:7], v[6:7], -0.5
	v_add_f64 v[42:43], v[18:19], v[82:83]
	v_add_f64 v[36:37], v[36:37], v[86:87]
	v_fma_f64 v[52:53], v[44:45], 0.5, v[28:29]
	v_fma_f64 v[44:45], v[44:45], s[6:7], v[46:47]
	v_fma_f64 v[46:47], v[48:49], s[4:5], v[30:31]
	v_fma_f64 v[54:55], v[50:51], s[6:7], v[32:33]
	v_fma_f64 v[48:49], v[48:49], s[6:7], v[30:31]
	v_fma_f64 v[50:51], v[50:51], s[4:5], v[32:33]
	v_fma_f64 v[56:57], v[26:27], -0.5, v[40:41]
	v_fma_f64 v[6:7], v[26:27], s[6:7], v[6:7]
	v_add_f64 v[18:19], v[38:39], v[34:35]
	v_add_f64 v[20:21], v[42:43], v[36:37]
	;; [unrolled: 1-line block ×4, first 2 shown]
	v_add_f64 v[26:27], v[38:39], -v[34:35]
	v_add_f64 v[28:29], v[42:43], -v[36:37]
	v_add_f64 v[38:39], v[48:49], v[56:57]
	v_add_f64 v[40:41], v[50:51], v[6:7]
	v_add_f64 v[34:35], v[46:47], -v[52:53]
	v_add_f64 v[36:37], v[54:55], -v[44:45]
	;; [unrolled: 1-line block ×4, first 2 shown]
	ds_write_b128 v4, v[18:21]
	ds_write_b128 v4, v[30:33] offset:96
	ds_write_b128 v4, v[38:41] offset:192
	;; [unrolled: 1-line block ×5, first 2 shown]
	v_mov_b32_e32 v4, 57
	v_mul_lo_u16_sdwa v4, v10, v4 dst_sel:DWORD dst_unused:UNUSED_PAD src0_sel:BYTE_0 src1_sel:DWORD
	v_lshrrev_b16_e32 v11, 11, v4
	v_mul_lo_u16_e32 v4, 36, v11
	v_sub_u16_e32 v15, v10, v4
	v_lshlrev_b32_sdwa v22, v1, v15 dst_sel:DWORD dst_unused:UNUSED_PAD src0_sel:DWORD src1_sel:BYTE_0
	s_waitcnt lgkmcnt(0)
	s_barrier
	global_load_dwordx4 v[4:7], v22, s[12:13] offset:480
	global_load_dwordx4 v[18:21], v22, s[12:13] offset:496
	v_mul_u32_u24_sdwa v22, v14, s9 dst_sel:DWORD dst_unused:UNUSED_PAD src0_sel:WORD_0 src1_sel:DWORD
	v_lshrrev_b32_e32 v22, 21, v22
	v_mul_lo_u16_e32 v26, 36, v22
	v_sub_u16_e32 v76, v14, v26
	v_lshlrev_b32_e32 v34, 5, v76
	global_load_dwordx4 v[26:29], v34, s[12:13] offset:480
	global_load_dwordx4 v[30:33], v34, s[12:13] offset:496
	v_mul_u32_u24_sdwa v34, v17, s9 dst_sel:DWORD dst_unused:UNUSED_PAD src0_sel:WORD_0 src1_sel:DWORD
	v_lshrrev_b32_e32 v77, 21, v34
	v_mul_lo_u16_e32 v34, 36, v77
	v_sub_u16_e32 v78, v17, v34
	v_lshlrev_b32_e32 v42, 5, v78
	;; [unrolled: 7-line block ×3, first 2 shown]
	global_load_dwordx4 v[42:45], v50, s[12:13] offset:480
	global_load_dwordx4 v[46:49], v50, s[12:13] offset:496
	ds_read_b128 v[50:53], v23 offset:15552
	ds_read_b128 v[54:57], v23 offset:31104
	;; [unrolled: 1-line block ×3, first 2 shown]
	ds_read_b128 v[62:65], v25
	v_mul_u32_u24_e32 v11, 0x6c0, v11
	v_lshlrev_b32_sdwa v15, v2, v15 dst_sel:DWORD dst_unused:UNUSED_PAD src0_sel:DWORD src1_sel:BYTE_0
	v_add3_u32 v11, 0, v11, v15
	v_lshlrev_b32_e32 v15, 4, v76
	s_movk_i32 s9, 0x13e0
	s_waitcnt vmcnt(7) lgkmcnt(3)
	v_mul_f64 v[66:67], v[52:53], v[6:7]
	v_mul_f64 v[6:7], v[50:51], v[6:7]
	s_waitcnt vmcnt(6) lgkmcnt(2)
	v_mul_f64 v[68:69], v[56:57], v[20:21]
	v_mul_f64 v[20:21], v[54:55], v[20:21]
	v_fma_f64 v[50:51], v[50:51], v[4:5], v[66:67]
	v_fma_f64 v[52:53], v[52:53], v[4:5], -v[6:7]
	ds_read_b128 v[4:7], v23 offset:34992
	s_waitcnt vmcnt(5) lgkmcnt(2)
	v_mul_f64 v[66:67], v[60:61], v[28:29]
	v_mul_f64 v[28:29], v[58:59], v[28:29]
	v_fma_f64 v[54:55], v[54:55], v[18:19], v[68:69]
	v_fma_f64 v[56:57], v[56:57], v[18:19], -v[20:21]
	ds_read_b128 v[18:21], v23 offset:38880
	s_waitcnt vmcnt(4) lgkmcnt(1)
	v_mul_f64 v[68:69], v[6:7], v[32:33]
	v_mul_f64 v[32:33], v[4:5], v[32:33]
	v_fma_f64 v[58:59], v[58:59], v[26:27], v[66:67]
	v_fma_f64 v[60:61], v[60:61], v[26:27], -v[28:29]
	ds_read_b128 v[26:29], v23 offset:23328
	v_fma_f64 v[66:67], v[4:5], v[30:31], v[68:69]
	v_fma_f64 v[68:69], v[6:7], v[30:31], -v[32:33]
	ds_read_b128 v[4:7], v23 offset:27216
	s_waitcnt vmcnt(3) lgkmcnt(1)
	v_mul_f64 v[30:31], v[28:29], v[36:37]
	v_mul_f64 v[32:33], v[26:27], v[36:37]
	s_waitcnt vmcnt(2)
	v_mul_f64 v[36:37], v[20:21], v[40:41]
	v_mul_f64 v[40:41], v[18:19], v[40:41]
	v_fma_f64 v[70:71], v[26:27], v[34:35], v[30:31]
	s_waitcnt vmcnt(1) lgkmcnt(0)
	v_mul_f64 v[26:27], v[6:7], v[44:45]
	v_fma_f64 v[72:73], v[28:29], v[34:35], -v[32:33]
	v_mul_f64 v[30:31], v[4:5], v[44:45]
	v_add_f64 v[32:33], v[50:51], v[54:55]
	v_fma_f64 v[44:45], v[18:19], v[38:39], v[36:37]
	v_fma_f64 v[39:40], v[20:21], v[38:39], -v[40:41]
	ds_read_b128 v[18:21], v23 offset:42768
	v_add_f64 v[36:37], v[52:53], -v[56:57]
	v_fma_f64 v[74:75], v[4:5], v[42:43], v[26:27]
	ds_read_b128 v[26:29], v23
	v_add_f64 v[4:5], v[52:53], v[56:57]
	v_fma_f64 v[41:42], v[6:7], v[42:43], -v[30:31]
	s_waitcnt vmcnt(0) lgkmcnt(1)
	v_mul_f64 v[6:7], v[20:21], v[48:49]
	v_mul_f64 v[30:31], v[18:19], v[48:49]
	s_waitcnt lgkmcnt(0)
	v_fma_f64 v[32:33], v[32:33], -0.5, v[26:27]
	v_add_f64 v[26:27], v[26:27], v[50:51]
	v_add_f64 v[50:51], v[50:51], -v[54:55]
	v_add_f64 v[34:35], v[28:29], v[52:53]
	v_fma_f64 v[48:49], v[4:5], -0.5, v[28:29]
	v_fma_f64 v[52:53], v[18:19], v[46:47], v[6:7]
	v_fma_f64 v[46:47], v[20:21], v[46:47], -v[30:31]
	v_fma_f64 v[18:19], v[36:37], s[4:5], v[32:33]
	v_add_f64 v[4:5], v[26:27], v[54:55]
	v_fma_f64 v[27:28], v[36:37], s[6:7], v[32:33]
	v_add_f64 v[6:7], v[34:35], v[56:57]
	v_fma_f64 v[20:21], v[50:51], s[6:7], v[48:49]
	v_fma_f64 v[29:30], v[50:51], s[4:5], v[48:49]
	v_add_f64 v[48:49], v[58:59], v[66:67]
	v_add_f64 v[50:51], v[60:61], v[68:69]
	ds_read_b128 v[31:34], v3
	v_lshl_add_u32 v26, v16, 4, 0
	ds_read_b128 v[35:38], v26
	s_waitcnt lgkmcnt(0)
	s_barrier
	v_fma_f64 v[48:49], v[48:49], -0.5, v[31:32]
	v_fma_f64 v[50:51], v[50:51], -0.5, v[33:34]
	v_add_f64 v[33:34], v[33:34], v[60:61]
	v_add_f64 v[31:32], v[31:32], v[58:59]
	ds_write_b128 v11, v[4:7]
	ds_write_b128 v11, v[18:21] offset:576
	ds_write_b128 v11, v[27:30] offset:1152
	v_add_f64 v[54:55], v[60:61], -v[68:69]
	v_add_f64 v[56:57], v[58:59], -v[66:67]
	v_mul_u32_u24_e32 v11, 0x6c0, v22
	v_add3_u32 v11, 0, v11, v15
	v_lshlrev_b32_e32 v15, 4, v78
	v_add_f64 v[6:7], v[33:34], v[68:69]
	v_add_f64 v[4:5], v[31:32], v[66:67]
	;; [unrolled: 1-line block ×4, first 2 shown]
	v_fma_f64 v[18:19], v[54:55], s[4:5], v[48:49]
	v_fma_f64 v[20:21], v[56:57], s[6:7], v[50:51]
	;; [unrolled: 1-line block ×4, first 2 shown]
	v_add_f64 v[50:51], v[72:73], -v[39:40]
	ds_write_b128 v11, v[4:7]
	v_add_f64 v[4:5], v[64:65], v[72:73]
	v_fma_f64 v[31:32], v[31:32], -0.5, v[62:63]
	v_add_f64 v[48:49], v[62:63], v[70:71]
	v_fma_f64 v[33:34], v[33:34], -0.5, v[64:65]
	v_add_f64 v[54:55], v[70:71], -v[44:45]
	ds_write_b128 v11, v[18:21] offset:576
	ds_write_b128 v11, v[27:30] offset:1152
	v_mul_u32_u24_e32 v11, 0x6c0, v77
	v_add_f64 v[6:7], v[4:5], v[39:40]
	v_add_f64 v[39:40], v[74:75], v[52:53]
	v_fma_f64 v[18:19], v[50:51], s[4:5], v[31:32]
	v_fma_f64 v[27:28], v[50:51], s[6:7], v[31:32]
	v_add_f64 v[31:32], v[41:42], v[46:47]
	v_add_f64 v[4:5], v[48:49], v[44:45]
	v_fma_f64 v[20:21], v[54:55], s[6:7], v[33:34]
	v_fma_f64 v[29:30], v[54:55], s[4:5], v[33:34]
	v_add_f64 v[43:44], v[74:75], -v[52:53]
	v_fma_f64 v[33:34], v[39:40], -0.5, v[35:36]
	v_add_f64 v[39:40], v[37:38], v[41:42]
	v_add_f64 v[35:36], v[35:36], v[74:75]
	v_add_f64 v[41:42], v[41:42], -v[46:47]
	v_fma_f64 v[37:38], v[31:32], -0.5, v[37:38]
	v_add3_u32 v11, 0, v11, v15
	ds_write_b128 v11, v[4:7]
	ds_write_b128 v11, v[18:21] offset:576
	ds_write_b128 v11, v[27:30] offset:1152
	v_mul_u32_u24_e32 v11, 0x6c0, v79
	v_add_f64 v[6:7], v[39:40], v[46:47]
	v_add_f64 v[4:5], v[35:36], v[52:53]
	v_fma_f64 v[31:32], v[41:42], s[4:5], v[33:34]
	v_fma_f64 v[35:36], v[41:42], s[6:7], v[33:34]
	;; [unrolled: 1-line block ×4, first 2 shown]
	v_lshlrev_b32_e32 v15, 4, v80
	v_add3_u32 v11, 0, v11, v15
	ds_write_b128 v11, v[4:7]
	ds_write_b128 v11, v[31:34] offset:576
	ds_write_b128 v11, v[35:38] offset:1152
	v_mov_b32_e32 v4, 19
	v_mul_lo_u16_sdwa v4, v10, v4 dst_sel:DWORD dst_unused:UNUSED_PAD src0_sel:BYTE_0 src1_sel:DWORD
	v_lshrrev_b16_e32 v11, 11, v4
	v_mul_lo_u16_e32 v4, 0x6c, v11
	v_sub_u16_e32 v15, v10, v4
	v_lshlrev_b32_sdwa v1, v1, v15 dst_sel:DWORD dst_unused:UNUSED_PAD src0_sel:DWORD src1_sel:BYTE_0
	s_waitcnt lgkmcnt(0)
	s_barrier
	global_load_dwordx4 v[4:7], v1, s[12:13] offset:1632
	global_load_dwordx4 v[18:21], v1, s[12:13] offset:1648
	v_lshrrev_b16_e32 v1, 2, v14
	v_mul_u32_u24_e32 v1, 0x4bdb, v1
	v_lshrrev_b32_e32 v22, 19, v1
	v_mul_lo_u16_e32 v1, 0x6c, v22
	v_sub_u16_e32 v75, v14, v1
	v_lshlrev_b32_e32 v1, 5, v75
	global_load_dwordx4 v[27:30], v1, s[12:13] offset:1632
	global_load_dwordx4 v[31:34], v1, s[12:13] offset:1648
	v_lshrrev_b16_e32 v1, 2, v17
	v_mul_u32_u24_e32 v1, 0x4bdb, v1
	v_lshrrev_b32_e32 v76, 19, v1
	v_mul_lo_u16_e32 v1, 0x6c, v76
	v_sub_u16_e32 v77, v17, v1
	v_lshlrev_b32_e32 v1, 5, v77
	;; [unrolled: 8-line block ×3, first 2 shown]
	global_load_dwordx4 v[43:46], v1, s[12:13] offset:1632
	global_load_dwordx4 v[47:50], v1, s[12:13] offset:1648
	ds_read_b128 v[51:54], v23 offset:15552
	ds_read_b128 v[55:58], v23 offset:31104
	ds_read_b128 v[59:62], v23 offset:19440
	v_lshlrev_b32_sdwa v15, v2, v15 dst_sel:DWORD dst_unused:UNUSED_PAD src0_sel:DWORD src1_sel:BYTE_0
	ds_read_b128 v[63:66], v25
	v_mul_u32_u24_e32 v11, 0x1440, v11
	v_add3_u32 v11, 0, v11, v15
	v_lshlrev_b32_e32 v15, 4, v75
	s_waitcnt vmcnt(7) lgkmcnt(3)
	v_mul_f64 v[67:68], v[53:54], v[6:7]
	v_mul_f64 v[6:7], v[51:52], v[6:7]
	s_waitcnt vmcnt(6) lgkmcnt(2)
	v_mul_f64 v[69:70], v[57:58], v[20:21]
	v_mul_f64 v[20:21], v[55:56], v[20:21]
	v_fma_f64 v[51:52], v[51:52], v[4:5], v[67:68]
	v_fma_f64 v[53:54], v[53:54], v[4:5], -v[6:7]
	ds_read_b128 v[4:7], v23 offset:34992
	s_waitcnt vmcnt(5) lgkmcnt(2)
	v_mul_f64 v[67:68], v[61:62], v[29:30]
	v_mul_f64 v[29:30], v[59:60], v[29:30]
	v_fma_f64 v[55:56], v[55:56], v[18:19], v[69:70]
	v_fma_f64 v[57:58], v[57:58], v[18:19], -v[20:21]
	ds_read_b128 v[18:21], v23 offset:38880
	;; [unrolled: 6-line block ×3, first 2 shown]
	v_fma_f64 v[67:68], v[4:5], v[31:32], v[69:70]
	v_fma_f64 v[69:70], v[6:7], v[31:32], -v[33:34]
	ds_read_b128 v[4:7], v23 offset:27216
	s_waitcnt vmcnt(3) lgkmcnt(1)
	v_mul_f64 v[31:32], v[29:30], v[37:38]
	v_mul_f64 v[33:34], v[27:28], v[37:38]
	s_waitcnt vmcnt(2)
	v_mul_f64 v[37:38], v[20:21], v[41:42]
	v_mul_f64 v[41:42], v[18:19], v[41:42]
	v_add_f64 v[1:2], v[59:60], v[67:68]
	v_fma_f64 v[71:72], v[27:28], v[35:36], v[31:32]
	s_waitcnt vmcnt(1) lgkmcnt(0)
	v_mul_f64 v[27:28], v[6:7], v[45:46]
	v_mul_f64 v[31:32], v[4:5], v[45:46]
	v_fma_f64 v[45:46], v[18:19], v[39:40], v[37:38]
	v_fma_f64 v[39:40], v[20:21], v[39:40], -v[41:42]
	v_fma_f64 v[73:74], v[29:30], v[35:36], -v[33:34]
	v_add_f64 v[33:34], v[51:52], v[55:56]
	ds_read_b128 v[18:21], v23 offset:42768
	v_add_f64 v[37:38], v[53:54], -v[57:58]
	v_fma_f64 v[41:42], v[4:5], v[43:44], v[27:28]
	ds_read_b128 v[27:30], v23
	v_add_f64 v[4:5], v[53:54], v[57:58]
	v_fma_f64 v[43:44], v[6:7], v[43:44], -v[31:32]
	s_waitcnt vmcnt(0) lgkmcnt(1)
	v_mul_f64 v[6:7], v[20:21], v[49:50]
	v_mul_f64 v[31:32], v[18:19], v[49:50]
	s_waitcnt lgkmcnt(0)
	v_add_f64 v[35:36], v[29:30], v[53:54]
	v_add_f64 v[49:50], v[51:52], -v[55:56]
	v_fma_f64 v[33:34], v[33:34], -0.5, v[27:28]
	v_add_f64 v[27:28], v[27:28], v[51:52]
	v_fma_f64 v[29:30], v[4:5], -0.5, v[29:30]
	v_add_f64 v[53:54], v[61:62], -v[69:70]
	v_fma_f64 v[51:52], v[18:19], v[47:48], v[6:7]
	v_fma_f64 v[47:48], v[20:21], v[47:48], -v[31:32]
	v_add_f64 v[6:7], v[35:36], v[57:58]
	v_fma_f64 v[18:19], v[37:38], s[4:5], v[33:34]
	v_add_f64 v[4:5], v[27:28], v[55:56]
	v_fma_f64 v[20:21], v[49:50], s[6:7], v[29:30]
	v_fma_f64 v[29:30], v[49:50], s[4:5], v[29:30]
	v_add_f64 v[49:50], v[61:62], v[69:70]
	v_fma_f64 v[27:28], v[37:38], s[6:7], v[33:34]
	ds_read_b128 v[31:34], v3
	ds_read_b128 v[35:38], v26
	s_waitcnt lgkmcnt(0)
	s_barrier
	v_fma_f64 v[1:2], v[1:2], -0.5, v[31:32]
	v_fma_f64 v[49:50], v[49:50], -0.5, v[33:34]
	v_add_f64 v[33:34], v[33:34], v[61:62]
	v_add_f64 v[31:32], v[31:32], v[59:60]
	ds_write_b128 v11, v[4:7]
	ds_write_b128 v11, v[18:21] offset:1728
	ds_write_b128 v11, v[27:30] offset:3456
	v_add_f64 v[55:56], v[59:60], -v[67:68]
	v_mul_u32_u24_e32 v11, 0x1440, v22
	v_add3_u32 v11, 0, v11, v15
	v_fma_f64 v[18:19], v[53:54], s[4:5], v[1:2]
	v_fma_f64 v[27:28], v[53:54], s[6:7], v[1:2]
	v_add_f64 v[6:7], v[33:34], v[69:70]
	v_add_f64 v[4:5], v[31:32], v[67:68]
	;; [unrolled: 1-line block ×4, first 2 shown]
	v_fma_f64 v[20:21], v[55:56], s[6:7], v[49:50]
	v_fma_f64 v[29:30], v[55:56], s[4:5], v[49:50]
	v_add_f64 v[49:50], v[73:74], -v[39:40]
	v_add_f64 v[33:34], v[63:64], v[71:72]
	v_add_f64 v[53:54], v[71:72], -v[45:46]
	ds_write_b128 v11, v[4:7]
	v_add_f64 v[4:5], v[65:66], v[73:74]
	v_fma_f64 v[1:2], v[1:2], -0.5, v[63:64]
	v_fma_f64 v[31:32], v[31:32], -0.5, v[65:66]
	ds_write_b128 v11, v[18:21] offset:1728
	ds_write_b128 v11, v[27:30] offset:3456
	v_mul_u32_u24_e32 v11, 0x1440, v76
	v_lshlrev_b32_e32 v15, 4, v77
	v_add3_u32 v11, 0, v11, v15
	v_add_f64 v[6:7], v[4:5], v[39:40]
	v_add_f64 v[39:40], v[41:42], v[51:52]
	v_fma_f64 v[18:19], v[49:50], s[4:5], v[1:2]
	v_fma_f64 v[27:28], v[49:50], s[6:7], v[1:2]
	v_add_f64 v[1:2], v[43:44], v[47:48]
	v_add_f64 v[4:5], v[33:34], v[45:46]
	v_fma_f64 v[20:21], v[53:54], s[6:7], v[31:32]
	v_fma_f64 v[29:30], v[53:54], s[4:5], v[31:32]
	v_add_f64 v[31:32], v[37:38], v[43:44]
	v_fma_f64 v[33:34], v[39:40], -0.5, v[35:36]
	v_add_f64 v[35:36], v[35:36], v[41:42]
	v_add_f64 v[39:40], v[43:44], -v[47:48]
	v_fma_f64 v[1:2], v[1:2], -0.5, v[37:38]
	v_add_f64 v[37:38], v[41:42], -v[51:52]
	ds_write_b128 v11, v[4:7]
	ds_write_b128 v11, v[18:21] offset:1728
	ds_write_b128 v11, v[27:30] offset:3456
	v_add_f64 v[6:7], v[31:32], v[47:48]
	v_add_f64 v[4:5], v[35:36], v[51:52]
	v_fma_f64 v[31:32], v[39:40], s[4:5], v[33:34]
	v_fma_f64 v[35:36], v[39:40], s[6:7], v[33:34]
	;; [unrolled: 1-line block ×4, first 2 shown]
	v_mul_u32_u24_e32 v1, 0x1440, v78
	v_lshlrev_b32_e32 v2, 4, v79
	v_add3_u32 v1, 0, v1, v2
	ds_write_b128 v1, v[4:7]
	ds_write_b128 v1, v[31:34] offset:1728
	ds_write_b128 v1, v[35:38] offset:3456
	v_lshlrev_b32_e32 v1, 1, v10
	v_mov_b32_e32 v2, 0
	v_lshlrev_b64 v[5:6], 4, v[1:2]
	v_mov_b32_e32 v4, s13
	v_add_co_u32_e32 v5, vcc, s12, v5
	v_addc_co_u32_e32 v6, vcc, v4, v6, vcc
	v_add_co_u32_e32 v31, vcc, s14, v5
	v_addc_co_u32_e32 v32, vcc, 0, v6, vcc
	v_add_co_u32_e32 v33, vcc, s9, v5
	v_addc_co_u32_e32 v34, vcc, 0, v6, vcc
	v_add_u32_e32 v1, 0xffffffaf, v10
	v_cmp_gt_u32_e32 vcc, s15, v10
	v_cndmask_b32_e32 v7, v1, v14, vcc
	s_waitcnt lgkmcnt(0)
	s_barrier
	global_load_dwordx4 v[18:21], v[31:32], off offset:992
	global_load_dwordx4 v[27:30], v[33:34], off offset:16
	v_lshlrev_b32_e32 v1, 1, v7
	v_lshlrev_b64 v[31:32], 4, v[1:2]
	s_movk_i32 s15, 0x6523
	v_add_co_u32_e32 v1, vcc, s12, v31
	v_addc_co_u32_e32 v11, vcc, v4, v32, vcc
	v_add_co_u32_e32 v39, vcc, s14, v1
	v_addc_co_u32_e32 v40, vcc, 0, v11, vcc
	;; [unrolled: 2-line block ×3, first 2 shown]
	global_load_dwordx4 v[31:34], v[39:40], off offset:992
	global_load_dwordx4 v[35:38], v[41:42], off offset:16
	v_mul_u32_u24_sdwa v1, v17, s15 dst_sel:DWORD dst_unused:UNUSED_PAD src0_sel:WORD_0 src1_sel:DWORD
	v_lshrrev_b32_e32 v1, 23, v1
	v_mul_lo_u16_e32 v11, 0x144, v1
	v_sub_u16_e32 v11, v17, v11
	v_lshlrev_b32_e32 v15, 5, v11
	v_add_co_u32_e32 v15, vcc, s12, v15
	v_addc_co_u32_e32 v22, vcc, 0, v4, vcc
	v_add_co_u32_e32 v47, vcc, s14, v15
	v_addc_co_u32_e32 v48, vcc, 0, v22, vcc
	v_add_co_u32_e32 v49, vcc, s9, v15
	v_mul_u32_u24_sdwa v15, v16, s15 dst_sel:DWORD dst_unused:UNUSED_PAD src0_sel:WORD_0 src1_sel:DWORD
	v_lshrrev_b32_e32 v15, 23, v15
	v_addc_co_u32_e32 v50, vcc, 0, v22, vcc
	global_load_dwordx4 v[39:42], v[47:48], off offset:992
	global_load_dwordx4 v[43:46], v[49:50], off offset:16
	v_mul_lo_u16_e32 v15, 0x144, v15
	v_sub_u16_e32 v15, v16, v15
	v_lshlrev_b32_e32 v22, 5, v15
	v_add_co_u32_e32 v22, vcc, s12, v22
	v_addc_co_u32_e32 v52, vcc, 0, v4, vcc
	v_add_co_u32_e32 v47, vcc, s14, v22
	v_addc_co_u32_e32 v48, vcc, 0, v52, vcc
	global_load_dwordx4 v[47:50], v[47:48], off offset:992
	v_add_co_u32_e32 v51, vcc, s9, v22
	v_addc_co_u32_e32 v52, vcc, 0, v52, vcc
	global_load_dwordx4 v[51:54], v[51:52], off offset:16
	ds_read_b128 v[55:58], v23 offset:15552
	ds_read_b128 v[59:62], v23 offset:31104
	;; [unrolled: 1-line block ×3, first 2 shown]
	ds_read_b128 v[67:70], v25
	v_cmp_lt_u32_e32 vcc, s8, v10
	v_lshlrev_b32_e32 v7, 4, v7
	v_mul_u32_u24_e32 v1, 0x3cc0, v1
	s_movk_i32 s8, 0x3000
	s_movk_i32 s9, 0x3c60
	s_waitcnt vmcnt(7) lgkmcnt(3)
	v_mul_f64 v[71:72], v[57:58], v[20:21]
	v_mul_f64 v[20:21], v[55:56], v[20:21]
	s_waitcnt vmcnt(6) lgkmcnt(2)
	v_mul_f64 v[73:74], v[61:62], v[29:30]
	v_mul_f64 v[29:30], v[59:60], v[29:30]
	v_fma_f64 v[55:56], v[55:56], v[18:19], v[71:72]
	v_fma_f64 v[57:58], v[57:58], v[18:19], -v[20:21]
	ds_read_b128 v[18:21], v23 offset:34992
	v_fma_f64 v[59:60], v[59:60], v[27:28], v[73:74]
	v_fma_f64 v[61:62], v[61:62], v[27:28], -v[29:30]
	ds_read_b128 v[27:30], v23 offset:38880
	s_waitcnt vmcnt(5) lgkmcnt(3)
	v_mul_f64 v[71:72], v[65:66], v[33:34]
	v_mul_f64 v[33:34], v[63:64], v[33:34]
	s_waitcnt vmcnt(4) lgkmcnt(1)
	v_mul_f64 v[73:74], v[20:21], v[37:38]
	v_mul_f64 v[37:38], v[18:19], v[37:38]
	v_fma_f64 v[63:64], v[63:64], v[31:32], v[71:72]
	v_fma_f64 v[65:66], v[65:66], v[31:32], -v[33:34]
	ds_read_b128 v[31:34], v23 offset:23328
	v_fma_f64 v[71:72], v[18:19], v[35:36], v[73:74]
	v_fma_f64 v[73:74], v[20:21], v[35:36], -v[37:38]
	ds_read_b128 v[18:21], v23 offset:27216
	s_waitcnt vmcnt(3) lgkmcnt(1)
	v_mul_f64 v[35:36], v[33:34], v[41:42]
	v_mul_f64 v[37:38], v[31:32], v[41:42]
	s_waitcnt vmcnt(2)
	v_mul_f64 v[41:42], v[29:30], v[45:46]
	v_mul_f64 v[45:46], v[27:28], v[45:46]
	v_fma_f64 v[75:76], v[31:32], v[39:40], v[35:36]
	v_fma_f64 v[77:78], v[33:34], v[39:40], -v[37:38]
	ds_read_b128 v[31:34], v23 offset:42768
	v_fma_f64 v[79:80], v[27:28], v[43:44], v[41:42]
	v_fma_f64 v[81:82], v[29:30], v[43:44], -v[45:46]
	ds_read_b128 v[27:30], v23
	s_waitcnt vmcnt(1) lgkmcnt(2)
	v_mul_f64 v[35:36], v[20:21], v[49:50]
	v_mul_f64 v[37:38], v[18:19], v[49:50]
	v_add_f64 v[43:44], v[57:58], -v[61:62]
	v_add_f64 v[45:46], v[55:56], -v[59:60]
	s_waitcnt vmcnt(0) lgkmcnt(1)
	v_mul_f64 v[39:40], v[33:34], v[53:54]
	v_mul_f64 v[41:42], v[31:32], v[53:54]
	v_fma_f64 v[53:54], v[18:19], v[47:48], v[35:36]
	v_fma_f64 v[83:84], v[20:21], v[47:48], -v[37:38]
	v_add_f64 v[18:19], v[55:56], v[59:60]
	v_add_f64 v[20:21], v[57:58], v[61:62]
	v_fma_f64 v[85:86], v[31:32], v[51:52], v[39:40]
	v_add_f64 v[39:40], v[63:64], v[71:72]
	v_fma_f64 v[51:52], v[33:34], v[51:52], -v[41:42]
	s_waitcnt lgkmcnt(0)
	v_add_f64 v[33:34], v[27:28], v[55:56]
	v_add_f64 v[41:42], v[65:66], v[73:74]
	;; [unrolled: 1-line block ×3, first 2 shown]
	v_fma_f64 v[35:36], v[18:19], -0.5, v[27:28]
	v_fma_f64 v[37:38], v[20:21], -0.5, v[29:30]
	ds_read_b128 v[18:21], v3
	v_add_f64 v[57:58], v[65:66], -v[73:74]
	v_add_f64 v[27:28], v[33:34], v[59:60]
	v_add_f64 v[59:60], v[63:64], -v[71:72]
	s_waitcnt lgkmcnt(0)
	v_fma_f64 v[47:48], v[39:40], -0.5, v[18:19]
	v_add_f64 v[39:40], v[20:21], v[65:66]
	v_add_f64 v[55:56], v[18:19], v[63:64]
	v_fma_f64 v[49:50], v[41:42], -0.5, v[20:21]
	v_add_f64 v[29:30], v[31:32], v[61:62]
	v_fma_f64 v[18:19], v[43:44], s[4:5], v[35:36]
	v_fma_f64 v[20:21], v[45:46], s[6:7], v[37:38]
	;; [unrolled: 1-line block ×4, first 2 shown]
	v_add_f64 v[41:42], v[39:40], v[73:74]
	v_add_f64 v[39:40], v[55:56], v[71:72]
	v_fma_f64 v[43:44], v[57:58], s[4:5], v[47:48]
	v_fma_f64 v[45:46], v[59:60], s[6:7], v[49:50]
	ds_read_b128 v[31:34], v26
	s_waitcnt lgkmcnt(0)
	s_barrier
	ds_write_b128 v23, v[27:30]
	ds_write_b128 v23, v[18:21] offset:5184
	ds_write_b128 v23, v[35:38] offset:10368
	v_mov_b32_e32 v18, 0x3cc0
	v_cndmask_b32_e32 v22, 0, v18, vcc
	v_add3_u32 v7, 0, v22, v7
	v_fma_f64 v[47:48], v[57:58], s[6:7], v[47:48]
	v_fma_f64 v[49:50], v[59:60], s[4:5], v[49:50]
	v_add_f64 v[18:19], v[75:76], v[79:80]
	v_add_f64 v[20:21], v[77:78], v[81:82]
	ds_write_b128 v7, v[39:42]
	ds_write_b128 v7, v[43:46] offset:5184
	v_add_f64 v[43:44], v[53:54], v[85:86]
	v_add_f64 v[45:46], v[83:84], v[51:52]
	;; [unrolled: 1-line block ×4, first 2 shown]
	v_add_f64 v[37:38], v[77:78], -v[81:82]
	v_fma_f64 v[35:36], v[18:19], -0.5, v[67:68]
	v_fma_f64 v[39:40], v[20:21], -0.5, v[69:70]
	v_add_f64 v[41:42], v[75:76], -v[79:80]
	ds_write_b128 v7, v[47:50] offset:10368
	v_fma_f64 v[43:44], v[43:44], -0.5, v[31:32]
	v_add_f64 v[47:48], v[33:34], v[83:84]
	v_add_f64 v[31:32], v[31:32], v[53:54]
	v_add_f64 v[49:50], v[83:84], -v[51:52]
	v_fma_f64 v[45:46], v[45:46], -0.5, v[33:34]
	v_add_f64 v[53:54], v[53:54], -v[85:86]
	v_add_f64 v[20:21], v[27:28], v[81:82]
	v_add_f64 v[18:19], v[29:30], v[79:80]
	v_fma_f64 v[27:28], v[37:38], s[4:5], v[35:36]
	v_fma_f64 v[29:30], v[41:42], s[6:7], v[39:40]
	v_add_f64 v[33:34], v[47:48], v[51:52]
	v_add_f64 v[31:32], v[31:32], v[85:86]
	v_fma_f64 v[35:36], v[37:38], s[6:7], v[35:36]
	v_fma_f64 v[37:38], v[41:42], s[4:5], v[39:40]
	;; [unrolled: 1-line block ×6, first 2 shown]
	v_lshlrev_b32_e32 v7, 4, v11
	v_add3_u32 v1, 0, v1, v7
	ds_write_b128 v1, v[18:21]
	ds_write_b128 v1, v[27:30] offset:5184
	ds_write_b128 v1, v[35:38] offset:10368
	v_lshl_add_u32 v1, v15, 4, 0
	ds_write_b128 v1, v[31:34] offset:31104
	ds_write_b128 v1, v[39:42] offset:36288
	;; [unrolled: 1-line block ×3, first 2 shown]
	v_add_co_u32_e32 v31, vcc, s8, v5
	v_addc_co_u32_e32 v32, vcc, 0, v6, vcc
	v_add_co_u32_e32 v5, vcc, s9, v5
	v_addc_co_u32_e32 v6, vcc, 0, v6, vcc
	v_lshlrev_b32_e32 v1, 1, v14
	s_waitcnt lgkmcnt(0)
	s_barrier
	global_load_dwordx4 v[18:21], v[31:32], off offset:3168
	global_load_dwordx4 v[27:30], v[5:6], off offset:16
	v_lshlrev_b64 v[5:6], 4, v[1:2]
	v_add_co_u32_e32 v1, vcc, s12, v5
	v_addc_co_u32_e32 v7, vcc, v4, v6, vcc
	v_add_co_u32_e32 v5, vcc, s8, v1
	v_addc_co_u32_e32 v6, vcc, 0, v7, vcc
	v_add_co_u32_e32 v39, vcc, s9, v1
	v_lshlrev_b32_e32 v1, 1, v17
	v_addc_co_u32_e32 v40, vcc, 0, v7, vcc
	global_load_dwordx4 v[31:34], v[5:6], off offset:3168
	global_load_dwordx4 v[35:38], v[39:40], off offset:16
	v_lshlrev_b64 v[5:6], 4, v[1:2]
	v_add_co_u32_e32 v1, vcc, s12, v5
	v_addc_co_u32_e32 v7, vcc, v4, v6, vcc
	v_add_co_u32_e32 v5, vcc, s8, v1
	v_addc_co_u32_e32 v6, vcc, 0, v7, vcc
	v_add_co_u32_e32 v47, vcc, s9, v1
	v_lshlrev_b32_e32 v1, 1, v16
	v_addc_co_u32_e32 v48, vcc, 0, v7, vcc
	global_load_dwordx4 v[39:42], v[5:6], off offset:3168
	global_load_dwordx4 v[43:46], v[47:48], off offset:16
	v_lshlrev_b64 v[5:6], 4, v[1:2]
	v_add_co_u32_e32 v1, vcc, s12, v5
	v_addc_co_u32_e32 v11, vcc, v4, v6, vcc
	v_add_co_u32_e32 v4, vcc, s8, v1
	v_addc_co_u32_e32 v5, vcc, 0, v11, vcc
	global_load_dwordx4 v[4:7], v[4:5], off offset:3168
	v_add_co_u32_e32 v47, vcc, s9, v1
	v_addc_co_u32_e32 v48, vcc, 0, v11, vcc
	global_load_dwordx4 v[47:50], v[47:48], off offset:16
	ds_read_b128 v[51:54], v23 offset:15552
	ds_read_b128 v[55:58], v23 offset:31104
	;; [unrolled: 1-line block ×3, first 2 shown]
	ds_read_b128 v[63:66], v25
	v_cmp_ne_u32_e32 vcc, 0, v10
	s_waitcnt vmcnt(7) lgkmcnt(3)
	v_mul_f64 v[67:68], v[53:54], v[20:21]
	v_mul_f64 v[20:21], v[51:52], v[20:21]
	s_waitcnt vmcnt(6) lgkmcnt(2)
	v_mul_f64 v[69:70], v[57:58], v[29:30]
	v_mul_f64 v[29:30], v[55:56], v[29:30]
	v_fma_f64 v[67:68], v[51:52], v[18:19], v[67:68]
	v_fma_f64 v[73:74], v[53:54], v[18:19], -v[20:21]
	ds_read_b128 v[18:21], v23 offset:34992
	v_fma_f64 v[55:56], v[55:56], v[27:28], v[69:70]
	v_fma_f64 v[57:58], v[57:58], v[27:28], -v[29:30]
	s_waitcnt vmcnt(5) lgkmcnt(2)
	v_mul_f64 v[71:72], v[61:62], v[33:34]
	v_mul_f64 v[33:34], v[59:60], v[33:34]
	s_waitcnt vmcnt(4) lgkmcnt(0)
	v_mul_f64 v[69:70], v[20:21], v[37:38]
	v_mul_f64 v[37:38], v[18:19], v[37:38]
	v_fma_f64 v[59:60], v[59:60], v[31:32], v[71:72]
	v_fma_f64 v[61:62], v[61:62], v[31:32], -v[33:34]
	ds_read_b128 v[27:30], v23 offset:23328
	ds_read_b128 v[31:34], v23 offset:38880
	;; [unrolled: 1-line block ×3, first 2 shown]
	v_fma_f64 v[69:70], v[18:19], v[35:36], v[69:70]
	v_fma_f64 v[35:36], v[20:21], v[35:36], -v[37:38]
	ds_read_b128 v[18:21], v23 offset:42768
	s_waitcnt vmcnt(3) lgkmcnt(3)
	v_mul_f64 v[71:72], v[29:30], v[41:42]
	s_waitcnt vmcnt(2) lgkmcnt(2)
	v_mul_f64 v[75:76], v[33:34], v[45:46]
	v_mul_f64 v[45:46], v[31:32], v[45:46]
	;; [unrolled: 1-line block ×3, first 2 shown]
	v_fma_f64 v[71:72], v[27:28], v[39:40], v[71:72]
	v_fma_f64 v[75:76], v[31:32], v[43:44], v[75:76]
	v_fma_f64 v[79:80], v[33:34], v[43:44], -v[45:46]
	v_fma_f64 v[77:78], v[29:30], v[39:40], -v[41:42]
	s_waitcnt vmcnt(1) lgkmcnt(1)
	v_mul_f64 v[37:38], v[53:54], v[6:7]
	v_mul_f64 v[6:7], v[51:52], v[6:7]
	ds_read_b128 v[27:30], v23
	v_add_f64 v[39:40], v[67:68], v[55:56]
	v_add_f64 v[43:44], v[73:74], -v[57:58]
	s_waitcnt vmcnt(0) lgkmcnt(1)
	v_mul_f64 v[31:32], v[20:21], v[49:50]
	v_mul_f64 v[33:34], v[18:19], v[49:50]
	v_add_f64 v[45:46], v[67:68], -v[55:56]
	v_fma_f64 v[49:50], v[51:52], v[4:5], v[37:38]
	v_add_f64 v[37:38], v[73:74], v[57:58]
	v_fma_f64 v[51:52], v[53:54], v[4:5], -v[6:7]
	v_fma_f64 v[53:54], v[18:19], v[47:48], v[31:32]
	v_fma_f64 v[47:48], v[20:21], v[47:48], -v[33:34]
	ds_read_b128 v[18:21], v3
	s_waitcnt lgkmcnt(1)
	v_add_f64 v[4:5], v[29:30], v[73:74]
	v_add_f64 v[41:42], v[27:28], v[67:68]
	v_fma_f64 v[37:38], v[37:38], -0.5, v[29:30]
	v_add_f64 v[29:30], v[59:60], v[69:70]
	v_fma_f64 v[39:40], v[39:40], -0.5, v[27:28]
	s_waitcnt lgkmcnt(0)
	v_add_f64 v[67:68], v[18:19], v[59:60]
	ds_read_b128 v[31:34], v26
	s_waitcnt lgkmcnt(0)
	v_add_f64 v[6:7], v[4:5], v[57:58]
	v_add_f64 v[4:5], v[41:42], v[55:56]
	;; [unrolled: 1-line block ×3, first 2 shown]
	v_fma_f64 v[55:56], v[29:30], -0.5, v[18:19]
	v_add_f64 v[57:58], v[20:21], v[61:62]
	v_add_f64 v[61:62], v[61:62], -v[35:36]
	v_fma_f64 v[27:28], v[43:44], s[4:5], v[39:40]
	v_fma_f64 v[29:30], v[45:46], s[6:7], v[37:38]
	;; [unrolled: 1-line block ×3, first 2 shown]
	s_barrier
	v_fma_f64 v[73:74], v[41:42], -0.5, v[20:21]
	v_fma_f64 v[20:21], v[45:46], s[4:5], v[37:38]
	v_add_f64 v[37:38], v[57:58], v[35:36]
	v_fma_f64 v[39:40], v[61:62], s[4:5], v[55:56]
	v_fma_f64 v[43:44], v[61:62], s[6:7], v[55:56]
	v_add_f64 v[55:56], v[71:72], v[75:76]
	v_add_f64 v[35:36], v[67:68], v[69:70]
	ds_write_b128 v23, v[4:7]
	ds_write_b128 v23, v[27:30] offset:15552
	v_add_f64 v[4:5], v[77:78], v[79:80]
	v_add_f64 v[59:60], v[59:60], -v[69:70]
	v_add_f64 v[29:30], v[49:50], v[53:54]
	ds_write_b128 v23, v[18:21] offset:31104
	v_fma_f64 v[20:21], v[55:56], -0.5, v[63:64]
	v_add_f64 v[55:56], v[51:52], v[47:48]
	v_add_f64 v[6:7], v[65:66], v[77:78]
	;; [unrolled: 1-line block ×3, first 2 shown]
	v_add_f64 v[27:28], v[77:78], -v[79:80]
	ds_write_b128 v3, v[35:38]
	v_fma_f64 v[35:36], v[4:5], -0.5, v[65:66]
	v_add_f64 v[37:38], v[71:72], -v[75:76]
	v_fma_f64 v[41:42], v[59:60], s[6:7], v[73:74]
	v_fma_f64 v[45:46], v[59:60], s[4:5], v[73:74]
	v_fma_f64 v[57:58], v[29:30], -0.5, v[31:32]
	v_add_f64 v[59:60], v[33:34], v[51:52]
	v_add_f64 v[31:32], v[31:32], v[49:50]
	v_add_f64 v[51:52], v[51:52], -v[47:48]
	v_fma_f64 v[55:56], v[55:56], -0.5, v[33:34]
	v_add_f64 v[49:50], v[49:50], -v[53:54]
	v_add_f64 v[6:7], v[6:7], v[79:80]
	v_add_f64 v[4:5], v[18:19], v[75:76]
	v_fma_f64 v[18:19], v[27:28], s[4:5], v[20:21]
	v_fma_f64 v[27:28], v[27:28], s[6:7], v[20:21]
	;; [unrolled: 1-line block ×4, first 2 shown]
	v_add_f64 v[33:34], v[59:60], v[47:48]
	v_add_f64 v[31:32], v[31:32], v[53:54]
	v_fma_f64 v[35:36], v[51:52], s[4:5], v[57:58]
	v_fma_f64 v[37:38], v[49:50], s[6:7], v[55:56]
	v_fma_f64 v[47:48], v[51:52], s[6:7], v[57:58]
	v_fma_f64 v[49:50], v[49:50], s[4:5], v[55:56]
	ds_write_b128 v3, v[39:42] offset:15552
	ds_write_b128 v3, v[43:46] offset:31104
	ds_write_b128 v25, v[4:7]
	ds_write_b128 v25, v[18:21] offset:15552
	ds_write_b128 v25, v[27:30] offset:31104
	ds_write_b128 v26, v[31:34]
	ds_write_b128 v26, v[35:38] offset:15552
	ds_write_b128 v26, v[47:50] offset:31104
	s_waitcnt lgkmcnt(0)
	s_barrier
	ds_read_b128 v[4:7], v23
	s_add_u32 s6, s12, 0xb5e0
	s_addc_u32 s7, s13, 0
	v_sub_u32_e32 v27, 0, v0
                                        ; implicit-def: $vgpr19_vgpr20
                                        ; implicit-def: $vgpr21_vgpr22
                                        ; implicit-def: $vgpr0_vgpr1
	s_and_saveexec_b64 s[4:5], vcc
	s_xor_b64 s[4:5], exec, s[4:5]
	s_cbranch_execz .LBB0_15
; %bb.14:
	v_mov_b32_e32 v11, v2
	v_lshlrev_b64 v[0:1], 4, v[10:11]
	v_mov_b32_e32 v2, s7
	v_add_co_u32_e32 v0, vcc, s6, v0
	v_addc_co_u32_e32 v1, vcc, v2, v1, vcc
	global_load_dwordx4 v[28:31], v[0:1], off
	ds_read_b128 v[0:3], v27 offset:46656
	s_waitcnt lgkmcnt(0)
	v_add_f64 v[18:19], v[4:5], -v[0:1]
	v_add_f64 v[20:21], v[6:7], v[2:3]
	v_add_f64 v[2:3], v[6:7], -v[2:3]
	v_add_f64 v[0:1], v[4:5], v[0:1]
	v_mul_f64 v[6:7], v[18:19], 0.5
	v_mul_f64 v[4:5], v[20:21], 0.5
	;; [unrolled: 1-line block ×3, first 2 shown]
	s_waitcnt vmcnt(0)
	v_mul_f64 v[18:19], v[6:7], v[30:31]
	v_fma_f64 v[20:21], v[4:5], v[30:31], v[2:3]
	v_fma_f64 v[2:3], v[4:5], v[30:31], -v[2:3]
	v_fma_f64 v[32:33], v[0:1], 0.5, v[18:19]
	v_fma_f64 v[0:1], v[0:1], 0.5, -v[18:19]
	v_fma_f64 v[21:22], -v[28:29], v[6:7], v[20:21]
	v_fma_f64 v[2:3], -v[28:29], v[6:7], v[2:3]
	v_fma_f64 v[19:20], v[4:5], v[28:29], v[32:33]
	v_fma_f64 v[0:1], -v[4:5], v[28:29], v[0:1]
                                        ; implicit-def: $vgpr4_vgpr5
.LBB0_15:
	s_or_saveexec_b64 s[4:5], s[4:5]
	v_mul_i32_i24_e32 v11, 0xffffffb0, v14
	s_xor_b64 exec, exec, s[4:5]
	s_cbranch_execz .LBB0_17
; %bb.16:
	s_waitcnt lgkmcnt(0)
	v_add_f64 v[19:20], v[4:5], v[6:7]
	v_add_f64 v[0:1], v[4:5], -v[6:7]
	v_mov_b32_e32 v4, 0
	ds_read_b64 v[2:3], v4 offset:23336
	v_mov_b32_e32 v21, 0
	v_mov_b32_e32 v22, 0
	s_waitcnt lgkmcnt(0)
	v_xor_b32_e32 v3, 0x80000000, v3
	ds_write_b64 v4, v[2:3] offset:23336
	v_mov_b32_e32 v2, v21
	v_mov_b32_e32 v3, v22
.LBB0_17:
	s_or_b64 exec, exec, s[4:5]
	v_mov_b32_e32 v15, 0
	s_waitcnt lgkmcnt(0)
	v_lshlrev_b64 v[4:5], 4, v[14:15]
	v_mov_b32_e32 v6, s7
	v_add_co_u32_e32 v4, vcc, s6, v4
	v_addc_co_u32_e32 v5, vcc, v6, v5, vcc
	global_load_dwordx4 v[4:7], v[4:5], off
	v_mov_b32_e32 v18, v15
	v_lshlrev_b64 v[17:18], 4, v[17:18]
	v_mov_b32_e32 v14, s7
	v_add_co_u32_e32 v17, vcc, s6, v17
	v_addc_co_u32_e32 v18, vcc, v14, v18, vcc
	global_load_dwordx4 v[28:31], v[17:18], off
	ds_write2_b64 v23, v[19:20], v[21:22] offset1:1
	ds_write_b128 v27, v[0:3] offset:46656
	v_add_u32_e32 v11, v24, v11
	ds_read_b128 v[0:3], v11
	ds_read_b128 v[17:20], v27 offset:42768
	s_waitcnt lgkmcnt(0)
	v_add_f64 v[21:22], v[0:1], -v[17:18]
	v_add_f64 v[32:33], v[2:3], v[19:20]
	v_add_f64 v[2:3], v[2:3], -v[19:20]
	v_add_f64 v[0:1], v[0:1], v[17:18]
	v_mov_b32_e32 v17, v15
	v_lshlrev_b64 v[16:17], 4, v[16:17]
	v_mul_f64 v[19:20], v[21:22], 0.5
	v_mul_f64 v[21:22], v[32:33], 0.5
	;; [unrolled: 1-line block ×3, first 2 shown]
	s_waitcnt vmcnt(1)
	v_mul_f64 v[32:33], v[19:20], v[6:7]
	v_fma_f64 v[34:35], v[21:22], v[6:7], v[2:3]
	v_fma_f64 v[6:7], v[21:22], v[6:7], -v[2:3]
	v_fma_f64 v[36:37], v[0:1], 0.5, v[32:33]
	v_fma_f64 v[32:33], v[0:1], 0.5, -v[32:33]
	v_add_co_u32_e32 v0, vcc, s6, v16
	v_addc_co_u32_e32 v1, vcc, v14, v17, vcc
	global_load_dwordx4 v[0:3], v[0:1], off
	v_fma_f64 v[16:17], -v[4:5], v[19:20], v[34:35]
	v_fma_f64 v[6:7], -v[4:5], v[19:20], v[6:7]
	v_fma_f64 v[18:19], v[21:22], v[4:5], v[36:37]
	v_fma_f64 v[4:5], -v[21:22], v[4:5], v[32:33]
	v_add_u32_e32 v14, 0x3cc, v10
	ds_write_b64 v11, v[16:17] offset:8
	ds_write_b64 v27, v[6:7] offset:42776
	ds_write_b64 v11, v[18:19]
	ds_write_b64 v27, v[4:5] offset:42768
	ds_read_b128 v[4:7], v25
	ds_read_b128 v[16:19], v27 offset:38880
	v_mov_b32_e32 v11, s7
	s_waitcnt lgkmcnt(0)
	v_add_f64 v[20:21], v[4:5], -v[16:17]
	v_add_f64 v[32:33], v[6:7], v[18:19]
	v_add_f64 v[6:7], v[6:7], -v[18:19]
	v_add_f64 v[4:5], v[4:5], v[16:17]
	v_mul_f64 v[18:19], v[20:21], 0.5
	v_mul_f64 v[20:21], v[32:33], 0.5
	;; [unrolled: 1-line block ×3, first 2 shown]
	v_lshlrev_b64 v[32:33], 4, v[14:15]
	v_add_u32_e32 v14, 0x4bf, v10
	s_waitcnt vmcnt(1)
	v_mul_f64 v[16:17], v[18:19], v[30:31]
	v_fma_f64 v[34:35], v[20:21], v[30:31], v[6:7]
	v_fma_f64 v[30:31], v[20:21], v[30:31], -v[6:7]
	v_fma_f64 v[36:37], v[4:5], 0.5, v[16:17]
	v_fma_f64 v[16:17], v[4:5], 0.5, -v[16:17]
	v_add_co_u32_e32 v4, vcc, s6, v32
	v_addc_co_u32_e32 v5, vcc, v11, v33, vcc
	global_load_dwordx4 v[4:7], v[4:5], off
	v_fma_f64 v[32:33], -v[28:29], v[18:19], v[34:35]
	v_fma_f64 v[18:19], -v[28:29], v[18:19], v[30:31]
	v_fma_f64 v[30:31], v[20:21], v[28:29], v[36:37]
	v_fma_f64 v[16:17], -v[20:21], v[28:29], v[16:17]
	ds_write2_b64 v25, v[30:31], v[32:33] offset1:1
	ds_write_b128 v27, v[16:19] offset:38880
	ds_read_b128 v[16:19], v26
	ds_read_b128 v[28:31], v27 offset:34992
	s_waitcnt lgkmcnt(0)
	v_add_f64 v[20:21], v[16:17], -v[28:29]
	v_add_f64 v[24:25], v[18:19], v[30:31]
	v_add_f64 v[18:19], v[18:19], -v[30:31]
	v_add_f64 v[16:17], v[16:17], v[28:29]
	v_lshlrev_b64 v[30:31], 4, v[14:15]
	v_mul_f64 v[20:21], v[20:21], 0.5
	v_mul_f64 v[24:25], v[24:25], 0.5
	;; [unrolled: 1-line block ×3, first 2 shown]
	s_waitcnt vmcnt(1)
	v_mul_f64 v[28:29], v[20:21], v[2:3]
	v_fma_f64 v[32:33], v[24:25], v[2:3], v[18:19]
	v_fma_f64 v[2:3], v[24:25], v[2:3], -v[18:19]
	v_fma_f64 v[34:35], v[16:17], 0.5, v[28:29]
	v_fma_f64 v[28:29], v[16:17], 0.5, -v[28:29]
	v_add_co_u32_e32 v16, vcc, s6, v30
	v_addc_co_u32_e32 v17, vcc, v11, v31, vcc
	global_load_dwordx4 v[16:19], v[16:17], off
	v_fma_f64 v[30:31], -v[0:1], v[20:21], v[32:33]
	v_fma_f64 v[2:3], -v[0:1], v[20:21], v[2:3]
	v_fma_f64 v[20:21], v[24:25], v[0:1], v[34:35]
	v_fma_f64 v[0:1], -v[24:25], v[0:1], v[28:29]
	ds_write2_b64 v26, v[20:21], v[30:31] offset1:1
	ds_write_b128 v27, v[0:3] offset:34992
	ds_read_b128 v[0:3], v23 offset:15552
	ds_read_b128 v[28:31], v27 offset:31104
	v_add_u32_e32 v11, 0x4800, v23
	s_waitcnt lgkmcnt(0)
	v_add_f64 v[20:21], v[0:1], -v[28:29]
	v_add_f64 v[24:25], v[2:3], v[30:31]
	v_add_f64 v[2:3], v[2:3], -v[30:31]
	v_add_f64 v[0:1], v[0:1], v[28:29]
	v_mul_f64 v[20:21], v[20:21], 0.5
	v_mul_f64 v[24:25], v[24:25], 0.5
	v_mul_f64 v[2:3], v[2:3], 0.5
	s_waitcnt vmcnt(1)
	v_mul_f64 v[28:29], v[20:21], v[6:7]
	v_fma_f64 v[30:31], v[24:25], v[6:7], v[2:3]
	v_fma_f64 v[2:3], v[24:25], v[6:7], -v[2:3]
	v_fma_f64 v[6:7], v[0:1], 0.5, v[28:29]
	v_fma_f64 v[0:1], v[0:1], 0.5, -v[28:29]
	v_fma_f64 v[28:29], -v[4:5], v[20:21], v[30:31]
	v_fma_f64 v[2:3], -v[4:5], v[20:21], v[2:3]
	v_fma_f64 v[6:7], v[24:25], v[4:5], v[6:7]
	v_fma_f64 v[0:1], -v[24:25], v[4:5], v[0:1]
	v_add_u32_e32 v4, 0x3800, v23
	ds_write2_b64 v4, v[6:7], v[28:29] offset0:152 offset1:153
	ds_write_b128 v27, v[0:3] offset:31104
	ds_read_b128 v[0:3], v23 offset:19440
	ds_read_b128 v[4:7], v27 offset:27216
	s_waitcnt lgkmcnt(0)
	v_add_f64 v[20:21], v[0:1], -v[4:5]
	v_add_f64 v[24:25], v[2:3], v[6:7]
	v_add_f64 v[2:3], v[2:3], -v[6:7]
	v_add_f64 v[0:1], v[0:1], v[4:5]
	v_mul_f64 v[6:7], v[20:21], 0.5
	v_mul_f64 v[20:21], v[24:25], 0.5
	;; [unrolled: 1-line block ×3, first 2 shown]
	s_waitcnt vmcnt(0)
	v_mul_f64 v[4:5], v[6:7], v[18:19]
	v_fma_f64 v[24:25], v[20:21], v[18:19], v[2:3]
	v_fma_f64 v[2:3], v[20:21], v[18:19], -v[2:3]
	v_fma_f64 v[18:19], v[0:1], 0.5, v[4:5]
	v_fma_f64 v[0:1], v[0:1], 0.5, -v[4:5]
	v_fma_f64 v[4:5], -v[16:17], v[6:7], v[24:25]
	v_fma_f64 v[2:3], -v[16:17], v[6:7], v[2:3]
	v_fma_f64 v[6:7], v[20:21], v[16:17], v[18:19]
	v_fma_f64 v[0:1], -v[20:21], v[16:17], v[0:1]
	ds_write2_b64 v11, v[6:7], v[4:5] offset0:126 offset1:127
	ds_write_b128 v27, v[0:3] offset:27216
	s_waitcnt lgkmcnt(0)
	s_barrier
	s_and_saveexec_b64 s[4:5], s[0:1]
	s_cbranch_execz .LBB0_20
; %bb.18:
	v_mul_lo_u32 v2, s3, v12
	v_mul_lo_u32 v3, s2, v13
	v_mad_u64_u32 v[0:1], s[0:1], s2, v12, 0
	v_mov_b32_e32 v6, s11
	v_lshl_add_u32 v13, v10, 4, 0
	v_add3_u32 v1, v1, v3, v2
	v_lshlrev_b64 v[0:1], 4, v[0:1]
	v_mov_b32_e32 v11, v15
	v_add_co_u32_e32 v0, vcc, s10, v0
	v_addc_co_u32_e32 v12, vcc, v6, v1, vcc
	v_lshlrev_b64 v[6:7], 4, v[8:9]
	ds_read_b128 v[2:5], v13
	v_add_co_u32_e32 v1, vcc, v0, v6
	v_addc_co_u32_e32 v0, vcc, v12, v7, vcc
	v_lshlrev_b64 v[6:7], 4, v[10:11]
	v_add_u32_e32 v14, 0xf3, v10
	v_add_co_u32_e32 v11, vcc, v1, v6
	v_addc_co_u32_e32 v12, vcc, v0, v7, vcc
	ds_read_b128 v[6:9], v13 offset:42768
	s_waitcnt lgkmcnt(1)
	global_store_dwordx4 v[11:12], v[2:5], off
	ds_read_b128 v[2:5], v13 offset:3888
	ds_read_b128 v[16:19], v13 offset:7776
	v_lshlrev_b64 v[11:12], 4, v[14:15]
	v_add_u32_e32 v14, 0x1e6, v10
	v_add_co_u32_e32 v11, vcc, v1, v11
	v_addc_co_u32_e32 v12, vcc, v0, v12, vcc
	s_waitcnt lgkmcnt(1)
	global_store_dwordx4 v[11:12], v[2:5], off
	s_movk_i32 s0, 0xf2
	v_lshlrev_b64 v[2:3], 4, v[14:15]
	v_add_u32_e32 v14, 0x2d9, v10
	v_add_co_u32_e32 v2, vcc, v1, v2
	v_addc_co_u32_e32 v3, vcc, v0, v3, vcc
	s_waitcnt lgkmcnt(0)
	global_store_dwordx4 v[2:3], v[16:19], off
	ds_read_b128 v[2:5], v13 offset:11664
	ds_read_b128 v[16:19], v13 offset:15552
	v_lshlrev_b64 v[11:12], 4, v[14:15]
	v_add_u32_e32 v14, 0x3cc, v10
	v_add_co_u32_e32 v11, vcc, v1, v11
	v_addc_co_u32_e32 v12, vcc, v0, v12, vcc
	s_waitcnt lgkmcnt(1)
	global_store_dwordx4 v[11:12], v[2:5], off
	s_nop 0
	v_lshlrev_b64 v[2:3], 4, v[14:15]
	v_add_u32_e32 v14, 0x4bf, v10
	v_add_co_u32_e32 v2, vcc, v1, v2
	v_addc_co_u32_e32 v3, vcc, v0, v3, vcc
	s_waitcnt lgkmcnt(0)
	global_store_dwordx4 v[2:3], v[16:19], off
	ds_read_b128 v[2:5], v13 offset:19440
	ds_read_b128 v[16:19], v13 offset:23328
	v_lshlrev_b64 v[11:12], 4, v[14:15]
	v_add_u32_e32 v14, 0x5b2, v10
	v_add_co_u32_e32 v11, vcc, v1, v11
	v_addc_co_u32_e32 v12, vcc, v0, v12, vcc
	s_waitcnt lgkmcnt(1)
	global_store_dwordx4 v[11:12], v[2:5], off
	s_nop 0
	;; [unrolled: 15-line block ×4, first 2 shown]
	v_lshlrev_b64 v[2:3], 4, v[14:15]
	v_add_u32_e32 v14, 0xa71, v10
	v_add_co_u32_e32 v2, vcc, v1, v2
	v_addc_co_u32_e32 v3, vcc, v0, v3, vcc
	s_waitcnt lgkmcnt(0)
	global_store_dwordx4 v[2:3], v[16:19], off
	v_lshlrev_b64 v[2:3], 4, v[14:15]
	v_add_co_u32_e32 v2, vcc, v1, v2
	v_addc_co_u32_e32 v3, vcc, v0, v3, vcc
	v_cmp_eq_u32_e32 vcc, s0, v10
	global_store_dwordx4 v[2:3], v[6:9], off
	s_and_b64 exec, exec, vcc
	s_cbranch_execz .LBB0_20
; %bb.19:
	v_mov_b32_e32 v2, 0
	ds_read_b128 v[2:5], v2 offset:46656
	v_add_co_u32_e32 v6, vcc, 0xb000, v1
	v_addc_co_u32_e32 v7, vcc, 0, v0, vcc
	s_waitcnt lgkmcnt(0)
	global_store_dwordx4 v[6:7], v[2:5], off offset:1600
.LBB0_20:
	s_endpgm
	.section	.rodata,"a",@progbits
	.p2align	6, 0x0
	.amdhsa_kernel fft_rtc_back_len2916_factors_6_6_3_3_3_3_wgs_243_tpt_243_halfLds_dp_op_CI_CI_unitstride_sbrr_R2C_dirReg
		.amdhsa_group_segment_fixed_size 0
		.amdhsa_private_segment_fixed_size 0
		.amdhsa_kernarg_size 104
		.amdhsa_user_sgpr_count 6
		.amdhsa_user_sgpr_private_segment_buffer 1
		.amdhsa_user_sgpr_dispatch_ptr 0
		.amdhsa_user_sgpr_queue_ptr 0
		.amdhsa_user_sgpr_kernarg_segment_ptr 1
		.amdhsa_user_sgpr_dispatch_id 0
		.amdhsa_user_sgpr_flat_scratch_init 0
		.amdhsa_user_sgpr_private_segment_size 0
		.amdhsa_uses_dynamic_stack 0
		.amdhsa_system_sgpr_private_segment_wavefront_offset 0
		.amdhsa_system_sgpr_workgroup_id_x 1
		.amdhsa_system_sgpr_workgroup_id_y 0
		.amdhsa_system_sgpr_workgroup_id_z 0
		.amdhsa_system_sgpr_workgroup_info 0
		.amdhsa_system_vgpr_workitem_id 0
		.amdhsa_next_free_vgpr 88
		.amdhsa_next_free_sgpr 28
		.amdhsa_reserve_vcc 1
		.amdhsa_reserve_flat_scratch 0
		.amdhsa_float_round_mode_32 0
		.amdhsa_float_round_mode_16_64 0
		.amdhsa_float_denorm_mode_32 3
		.amdhsa_float_denorm_mode_16_64 3
		.amdhsa_dx10_clamp 1
		.amdhsa_ieee_mode 1
		.amdhsa_fp16_overflow 0
		.amdhsa_exception_fp_ieee_invalid_op 0
		.amdhsa_exception_fp_denorm_src 0
		.amdhsa_exception_fp_ieee_div_zero 0
		.amdhsa_exception_fp_ieee_overflow 0
		.amdhsa_exception_fp_ieee_underflow 0
		.amdhsa_exception_fp_ieee_inexact 0
		.amdhsa_exception_int_div_zero 0
	.end_amdhsa_kernel
	.text
.Lfunc_end0:
	.size	fft_rtc_back_len2916_factors_6_6_3_3_3_3_wgs_243_tpt_243_halfLds_dp_op_CI_CI_unitstride_sbrr_R2C_dirReg, .Lfunc_end0-fft_rtc_back_len2916_factors_6_6_3_3_3_3_wgs_243_tpt_243_halfLds_dp_op_CI_CI_unitstride_sbrr_R2C_dirReg
                                        ; -- End function
	.section	.AMDGPU.csdata,"",@progbits
; Kernel info:
; codeLenInByte = 11268
; NumSgprs: 32
; NumVgprs: 88
; ScratchSize: 0
; MemoryBound: 0
; FloatMode: 240
; IeeeMode: 1
; LDSByteSize: 0 bytes/workgroup (compile time only)
; SGPRBlocks: 3
; VGPRBlocks: 21
; NumSGPRsForWavesPerEU: 32
; NumVGPRsForWavesPerEU: 88
; Occupancy: 2
; WaveLimiterHint : 1
; COMPUTE_PGM_RSRC2:SCRATCH_EN: 0
; COMPUTE_PGM_RSRC2:USER_SGPR: 6
; COMPUTE_PGM_RSRC2:TRAP_HANDLER: 0
; COMPUTE_PGM_RSRC2:TGID_X_EN: 1
; COMPUTE_PGM_RSRC2:TGID_Y_EN: 0
; COMPUTE_PGM_RSRC2:TGID_Z_EN: 0
; COMPUTE_PGM_RSRC2:TIDIG_COMP_CNT: 0
	.type	__hip_cuid_787aac6b4665008e,@object ; @__hip_cuid_787aac6b4665008e
	.section	.bss,"aw",@nobits
	.globl	__hip_cuid_787aac6b4665008e
__hip_cuid_787aac6b4665008e:
	.byte	0                               ; 0x0
	.size	__hip_cuid_787aac6b4665008e, 1

	.ident	"AMD clang version 19.0.0git (https://github.com/RadeonOpenCompute/llvm-project roc-6.4.0 25133 c7fe45cf4b819c5991fe208aaa96edf142730f1d)"
	.section	".note.GNU-stack","",@progbits
	.addrsig
	.addrsig_sym __hip_cuid_787aac6b4665008e
	.amdgpu_metadata
---
amdhsa.kernels:
  - .args:
      - .actual_access:  read_only
        .address_space:  global
        .offset:         0
        .size:           8
        .value_kind:     global_buffer
      - .offset:         8
        .size:           8
        .value_kind:     by_value
      - .actual_access:  read_only
        .address_space:  global
        .offset:         16
        .size:           8
        .value_kind:     global_buffer
      - .actual_access:  read_only
        .address_space:  global
        .offset:         24
        .size:           8
        .value_kind:     global_buffer
      - .actual_access:  read_only
        .address_space:  global
        .offset:         32
        .size:           8
        .value_kind:     global_buffer
      - .offset:         40
        .size:           8
        .value_kind:     by_value
      - .actual_access:  read_only
        .address_space:  global
        .offset:         48
        .size:           8
        .value_kind:     global_buffer
      - .actual_access:  read_only
        .address_space:  global
        .offset:         56
        .size:           8
        .value_kind:     global_buffer
      - .offset:         64
        .size:           4
        .value_kind:     by_value
      - .actual_access:  read_only
        .address_space:  global
        .offset:         72
        .size:           8
        .value_kind:     global_buffer
      - .actual_access:  read_only
        .address_space:  global
        .offset:         80
        .size:           8
        .value_kind:     global_buffer
      - .actual_access:  read_only
        .address_space:  global
        .offset:         88
        .size:           8
        .value_kind:     global_buffer
      - .actual_access:  write_only
        .address_space:  global
        .offset:         96
        .size:           8
        .value_kind:     global_buffer
    .group_segment_fixed_size: 0
    .kernarg_segment_align: 8
    .kernarg_segment_size: 104
    .language:       OpenCL C
    .language_version:
      - 2
      - 0
    .max_flat_workgroup_size: 243
    .name:           fft_rtc_back_len2916_factors_6_6_3_3_3_3_wgs_243_tpt_243_halfLds_dp_op_CI_CI_unitstride_sbrr_R2C_dirReg
    .private_segment_fixed_size: 0
    .sgpr_count:     32
    .sgpr_spill_count: 0
    .symbol:         fft_rtc_back_len2916_factors_6_6_3_3_3_3_wgs_243_tpt_243_halfLds_dp_op_CI_CI_unitstride_sbrr_R2C_dirReg.kd
    .uniform_work_group_size: 1
    .uses_dynamic_stack: false
    .vgpr_count:     88
    .vgpr_spill_count: 0
    .wavefront_size: 64
amdhsa.target:   amdgcn-amd-amdhsa--gfx906
amdhsa.version:
  - 1
  - 2
...

	.end_amdgpu_metadata
